;; amdgpu-corpus repo=ROCm/rocFFT kind=compiled arch=gfx906 opt=O3
	.text
	.amdgcn_target "amdgcn-amd-amdhsa--gfx906"
	.amdhsa_code_object_version 6
	.protected	bluestein_single_back_len715_dim1_sp_op_CI_CI ; -- Begin function bluestein_single_back_len715_dim1_sp_op_CI_CI
	.globl	bluestein_single_back_len715_dim1_sp_op_CI_CI
	.p2align	8
	.type	bluestein_single_back_len715_dim1_sp_op_CI_CI,@function
bluestein_single_back_len715_dim1_sp_op_CI_CI: ; @bluestein_single_back_len715_dim1_sp_op_CI_CI
; %bb.0:
	v_mul_u32_u24_e32 v1, 0x3f1, v0
	s_load_dwordx4 s[0:3], s[4:5], 0x28
	v_lshrrev_b32_e32 v1, 16, v1
	v_mad_u64_u32 v[74:75], s[6:7], s6, 3, v[1:2]
	v_mov_b32_e32 v75, 0
	s_waitcnt lgkmcnt(0)
	v_cmp_gt_u64_e32 vcc, s[0:1], v[74:75]
	s_and_saveexec_b64 s[0:1], vcc
	s_cbranch_execz .LBB0_23
; %bb.1:
	s_mov_b32 s0, 0xaaaaaaab
	v_mul_hi_u32 v2, v74, s0
	v_mul_lo_u16_e32 v1, 0x41, v1
	s_load_dwordx2 s[8:9], s[4:5], 0x0
	s_load_dwordx2 s[10:11], s[4:5], 0x38
	v_sub_u16_e32 v82, v0, v1
	v_lshrrev_b32_e32 v0, 1, v2
	v_lshl_add_u32 v0, v0, 1, v0
	v_sub_u32_e32 v0, v74, v0
	v_mul_u32_u24_e32 v54, 0x2cb, v0
	v_cmp_gt_u16_e64 s[0:1], 55, v82
	v_lshlrev_b32_e32 v81, 3, v82
	v_lshlrev_b32_e32 v83, 3, v54
	s_and_saveexec_b64 s[6:7], s[0:1]
	s_cbranch_execz .LBB0_3
; %bb.2:
	s_load_dwordx2 s[12:13], s[4:5], 0x18
	s_waitcnt lgkmcnt(0)
	s_load_dwordx4 s[12:15], s[12:13], 0x0
	s_waitcnt lgkmcnt(0)
	v_mad_u64_u32 v[0:1], s[16:17], s14, v74, 0
	v_mad_u64_u32 v[2:3], s[16:17], s12, v82, 0
	;; [unrolled: 1-line block ×4, first 2 shown]
	v_mov_b32_e32 v1, v4
	v_lshlrev_b64 v[0:1], 3, v[0:1]
	v_mov_b32_e32 v3, v5
	v_mov_b32_e32 v6, s3
	v_lshlrev_b64 v[2:3], 3, v[2:3]
	v_add_co_u32_e32 v0, vcc, s2, v0
	v_addc_co_u32_e32 v1, vcc, v6, v1, vcc
	v_add_co_u32_e32 v0, vcc, v0, v2
	v_addc_co_u32_e32 v1, vcc, v1, v3, vcc
	v_mov_b32_e32 v2, s9
	v_add_co_u32_e32 v44, vcc, s8, v81
	s_mul_i32 s2, s13, 0x1b8
	s_mul_hi_u32 s3, s12, 0x1b8
	v_addc_co_u32_e32 v45, vcc, 0, v2, vcc
	s_add_i32 s2, s3, s2
	s_mul_i32 s3, s12, 0x1b8
	v_mov_b32_e32 v3, s2
	v_add_co_u32_e32 v2, vcc, s3, v0
	v_addc_co_u32_e32 v3, vcc, v1, v3, vcc
	v_mov_b32_e32 v5, s2
	v_add_co_u32_e32 v4, vcc, s3, v2
	v_addc_co_u32_e32 v5, vcc, v3, v5, vcc
	;; [unrolled: 3-line block ×3, first 2 shown]
	global_load_dwordx2 v[8:9], v[0:1], off
	global_load_dwordx2 v[10:11], v[2:3], off
	;; [unrolled: 1-line block ×4, first 2 shown]
	global_load_dwordx2 v[16:17], v81, s[8:9]
	global_load_dwordx2 v[18:19], v81, s[8:9] offset:440
	global_load_dwordx2 v[20:21], v81, s[8:9] offset:880
	;; [unrolled: 1-line block ×3, first 2 shown]
	v_mov_b32_e32 v1, s2
	v_add_co_u32_e32 v0, vcc, s3, v6
	v_addc_co_u32_e32 v1, vcc, v7, v1, vcc
	global_load_dwordx2 v[2:3], v[0:1], off
	v_mov_b32_e32 v4, s2
	v_add_co_u32_e32 v0, vcc, s3, v0
	v_addc_co_u32_e32 v1, vcc, v1, v4, vcc
	global_load_dwordx2 v[4:5], v[0:1], off
	v_mov_b32_e32 v6, s2
	v_add_co_u32_e32 v0, vcc, s3, v0
	v_addc_co_u32_e32 v1, vcc, v1, v6, vcc
	global_load_dwordx2 v[6:7], v[0:1], off
	v_mov_b32_e32 v24, s2
	v_add_co_u32_e32 v0, vcc, s3, v0
	v_addc_co_u32_e32 v1, vcc, v1, v24, vcc
	global_load_dwordx2 v[24:25], v[0:1], off
	global_load_dwordx2 v[26:27], v81, s[8:9] offset:1760
	global_load_dwordx2 v[28:29], v81, s[8:9] offset:2200
	;; [unrolled: 1-line block ×4, first 2 shown]
	v_mov_b32_e32 v34, s2
	v_add_co_u32_e32 v0, vcc, s3, v0
	v_addc_co_u32_e32 v1, vcc, v1, v34, vcc
	global_load_dwordx2 v[34:35], v[0:1], off
	v_mov_b32_e32 v36, s2
	v_add_co_u32_e32 v0, vcc, s3, v0
	v_addc_co_u32_e32 v1, vcc, v1, v36, vcc
	global_load_dwordx2 v[36:37], v[0:1], off
	global_load_dwordx2 v[38:39], v81, s[8:9] offset:3520
	global_load_dwordx2 v[40:41], v81, s[8:9] offset:3960
	v_mov_b32_e32 v42, s2
	v_add_co_u32_e32 v0, vcc, s3, v0
	v_addc_co_u32_e32 v1, vcc, v1, v42, vcc
	s_movk_i32 s12, 0x1000
	v_add_co_u32_e32 v44, vcc, s12, v44
	v_addc_co_u32_e32 v45, vcc, 0, v45, vcc
	global_load_dwordx2 v[42:43], v[0:1], off
	v_mov_b32_e32 v48, s2
	v_add_co_u32_e32 v0, vcc, s3, v0
	v_addc_co_u32_e32 v1, vcc, v1, v48, vcc
	global_load_dwordx2 v[46:47], v[44:45], off offset:304
	global_load_dwordx2 v[48:49], v[0:1], off
	global_load_dwordx2 v[50:51], v[44:45], off offset:744
	v_mov_b32_e32 v52, s2
	v_add_co_u32_e32 v0, vcc, s3, v0
	v_addc_co_u32_e32 v1, vcc, v1, v52, vcc
	global_load_dwordx2 v[52:53], v[0:1], off
	global_load_dwordx2 v[55:56], v[44:45], off offset:1184
	v_lshl_add_u32 v44, v82, 3, v83
	s_waitcnt vmcnt(21)
	v_mul_f32_e32 v0, v9, v17
	v_mul_f32_e32 v1, v8, v17
	v_fmac_f32_e32 v0, v8, v16
	v_fma_f32 v1, v9, v16, -v1
	ds_write_b64 v44, v[0:1]
	s_waitcnt vmcnt(20)
	v_mul_f32_e32 v0, v11, v19
	v_mul_f32_e32 v1, v10, v19
	s_waitcnt vmcnt(19)
	v_mul_f32_e32 v8, v13, v21
	v_mul_f32_e32 v9, v12, v21
	v_fmac_f32_e32 v0, v10, v18
	v_add_u32_e32 v16, v83, v81
	v_fma_f32 v1, v11, v18, -v1
	v_fmac_f32_e32 v8, v12, v20
	v_fma_f32 v9, v13, v20, -v9
	ds_write2_b64 v16, v[0:1], v[8:9] offset0:55 offset1:110
	s_waitcnt vmcnt(18)
	v_mul_f32_e32 v0, v15, v23
	v_mul_f32_e32 v1, v14, v23
	v_fmac_f32_e32 v0, v14, v22
	v_fma_f32 v1, v15, v22, -v1
	s_waitcnt vmcnt(13)
	v_mul_f32_e32 v8, v3, v27
	v_fmac_f32_e32 v8, v2, v26
	v_mul_f32_e32 v2, v2, v27
	v_fma_f32 v9, v3, v26, -v2
	ds_write2_b64 v16, v[0:1], v[8:9] offset0:165 offset1:220
	s_waitcnt vmcnt(12)
	v_mul_f32_e32 v0, v5, v29
	v_mul_f32_e32 v1, v4, v29
	s_waitcnt vmcnt(11)
	v_mul_f32_e32 v2, v7, v31
	v_mul_f32_e32 v3, v6, v31
	v_fmac_f32_e32 v0, v4, v28
	v_fma_f32 v1, v5, v28, -v1
	v_fmac_f32_e32 v2, v6, v30
	v_fma_f32 v3, v7, v30, -v3
	v_add_u32_e32 v4, 0x800, v16
	ds_write2_b64 v4, v[0:1], v[2:3] offset0:19 offset1:74
	s_waitcnt vmcnt(10)
	v_mul_f32_e32 v0, v25, v33
	v_mul_f32_e32 v1, v24, v33
	s_waitcnt vmcnt(7)
	v_mul_f32_e32 v2, v35, v39
	v_mul_f32_e32 v3, v34, v39
	v_fmac_f32_e32 v0, v24, v32
	v_fma_f32 v1, v25, v32, -v1
	v_fmac_f32_e32 v2, v34, v38
	v_fma_f32 v3, v35, v38, -v3
	ds_write2_b64 v4, v[0:1], v[2:3] offset0:129 offset1:184
	s_waitcnt vmcnt(6)
	v_mul_f32_e32 v0, v37, v41
	v_mul_f32_e32 v1, v36, v41
	v_fmac_f32_e32 v0, v36, v40
	v_fma_f32 v1, v37, v40, -v1
	v_add_u32_e32 v4, 0xc00, v16
	s_waitcnt vmcnt(4)
	v_mul_f32_e32 v2, v43, v47
	v_mul_f32_e32 v3, v42, v47
	v_fmac_f32_e32 v2, v42, v46
	v_fma_f32 v3, v43, v46, -v3
	ds_write2_b64 v4, v[0:1], v[2:3] offset0:111 offset1:166
	s_waitcnt vmcnt(2)
	v_mul_f32_e32 v0, v49, v51
	v_mul_f32_e32 v1, v48, v51
	s_waitcnt vmcnt(0)
	v_mul_f32_e32 v2, v53, v56
	v_mul_f32_e32 v3, v52, v56
	v_fmac_f32_e32 v0, v48, v50
	v_fma_f32 v1, v49, v50, -v1
	v_fmac_f32_e32 v2, v52, v55
	v_fma_f32 v3, v53, v55, -v3
	v_add_u32_e32 v4, 0x1000, v16
	ds_write2_b64 v4, v[0:1], v[2:3] offset0:93 offset1:148
.LBB0_3:
	s_or_b64 exec, exec, s[6:7]
	v_mov_b32_e32 v0, 0
	v_mov_b32_e32 v1, 0
	s_waitcnt lgkmcnt(0)
	s_barrier
	s_waitcnt lgkmcnt(0)
                                        ; implicit-def: $vgpr6
                                        ; implicit-def: $vgpr12
                                        ; implicit-def: $vgpr20
                                        ; implicit-def: $vgpr26
                                        ; implicit-def: $vgpr18
                                        ; implicit-def: $vgpr10
	s_and_saveexec_b64 s[2:3], s[0:1]
	s_cbranch_execz .LBB0_5
; %bb.4:
	v_lshl_add_u32 v24, v54, 3, v81
	v_add_u32_e32 v4, 0x400, v24
	v_add_u32_e32 v12, 0x800, v24
	;; [unrolled: 1-line block ×3, first 2 shown]
	ds_read2_b64 v[0:3], v24 offset1:55
	ds_read2_b64 v[8:11], v24 offset0:110 offset1:165
	ds_read2_b64 v[16:19], v4 offset0:92 offset1:147
	;; [unrolled: 1-line block ×5, first 2 shown]
	ds_read_b64 v[26:27], v24 offset:5280
.LBB0_5:
	s_or_b64 exec, exec, s[2:3]
	s_waitcnt lgkmcnt(0)
	v_sub_f32_e32 v65, v3, v27
	v_mul_f32_e32 v42, 0xbeedf032, v65
	v_sub_f32_e32 v69, v9, v23
	v_add_f32_e32 v32, v26, v2
	v_sub_f32_e32 v68, v2, v26
	v_mov_b32_e32 v24, v42
	v_mul_f32_e32 v46, 0xbf52af12, v69
	v_add_f32_e32 v33, v27, v3
	s_mov_b32 s14, 0x3f62ad3f
	v_mul_f32_e32 v44, 0xbeedf032, v68
	v_fmac_f32_e32 v24, 0x3f62ad3f, v32
	v_add_f32_e32 v34, v22, v8
	v_sub_f32_e32 v70, v8, v22
	v_mov_b32_e32 v30, v46
	v_add_f32_e32 v24, v24, v0
	v_fma_f32 v25, v33, s14, -v44
	s_mov_b32 s15, 0x3f116cb1
	v_mul_f32_e32 v49, 0xbf52af12, v65
	v_add_f32_e32 v35, v23, v9
	v_mul_f32_e32 v47, 0xbf52af12, v70
	v_fmac_f32_e32 v30, 0x3f116cb1, v34
	v_add_f32_e32 v25, v25, v1
	v_mov_b32_e32 v28, v49
	v_add_f32_e32 v24, v30, v24
	v_fma_f32 v30, v35, s15, -v47
	v_mul_f32_e32 v52, 0xbf6f5d39, v69
	v_mul_f32_e32 v53, 0xbf52af12, v68
	v_fmac_f32_e32 v28, 0x3f116cb1, v32
	v_add_f32_e32 v25, v30, v25
	v_mov_b32_e32 v30, v52
	v_add_f32_e32 v28, v28, v0
	v_fma_f32 v29, v33, s15, -v53
	s_mov_b32 s17, 0xbeb58ec6
	v_mul_f32_e32 v58, 0xbf6f5d39, v70
	v_fmac_f32_e32 v30, 0xbeb58ec6, v34
	v_sub_f32_e32 v71, v11, v21
	v_add_f32_e32 v29, v29, v1
	v_add_f32_e32 v28, v30, v28
	v_fma_f32 v30, v35, s17, -v58
	v_mul_f32_e32 v48, 0xbf7e222b, v71
	v_add_f32_e32 v29, v30, v29
	v_add_f32_e32 v36, v20, v10
	v_sub_f32_e32 v75, v10, v20
	v_mov_b32_e32 v30, v48
	s_mov_b32 s16, 0x3df6dbef
	v_add_f32_e32 v37, v21, v11
	v_mul_f32_e32 v50, 0xbf7e222b, v75
	v_fmac_f32_e32 v30, 0x3df6dbef, v36
	v_add_f32_e32 v24, v30, v24
	v_fma_f32 v30, v37, s16, -v50
	v_mul_f32_e32 v56, 0xbe750f2a, v71
	v_add_f32_e32 v25, v30, v25
	v_mov_b32_e32 v30, v56
	s_mov_b32 s18, 0xbf788fa5
	v_mul_f32_e32 v62, 0xbe750f2a, v75
	v_fmac_f32_e32 v30, 0xbf788fa5, v36
	v_sub_f32_e32 v76, v17, v15
	v_add_f32_e32 v28, v30, v28
	v_fma_f32 v30, v37, s18, -v62
	v_mul_f32_e32 v51, 0xbf6f5d39, v76
	v_add_f32_e32 v29, v30, v29
	v_add_f32_e32 v38, v14, v16
	v_sub_f32_e32 v77, v16, v14
	v_mov_b32_e32 v30, v51
	v_add_f32_e32 v39, v15, v17
	v_mul_f32_e32 v55, 0xbf6f5d39, v77
	v_fmac_f32_e32 v30, 0xbeb58ec6, v38
	v_add_f32_e32 v24, v30, v24
	v_fma_f32 v30, v39, s17, -v55
	v_mul_f32_e32 v60, 0x3f29c268, v76
	v_add_f32_e32 v25, v30, v25
	v_mov_b32_e32 v30, v60
	s_mov_b32 s19, 0xbf3f9e67
	v_mul_f32_e32 v66, 0x3f29c268, v77
	v_fmac_f32_e32 v30, 0xbf3f9e67, v38
	v_sub_f32_e32 v78, v19, v13
	v_add_f32_e32 v28, v30, v28
	v_fma_f32 v30, v39, s19, -v66
	v_mul_f32_e32 v57, 0xbf29c268, v78
	v_add_f32_e32 v29, v30, v29
	v_add_f32_e32 v40, v12, v18
	v_sub_f32_e32 v90, v18, v12
	v_mov_b32_e32 v30, v57
	v_add_f32_e32 v41, v13, v19
	v_mul_f32_e32 v59, 0xbf29c268, v90
	v_fmac_f32_e32 v30, 0xbf3f9e67, v40
	v_sub_f32_e32 v89, v5, v7
	v_add_f32_e32 v24, v30, v24
	v_fma_f32 v30, v41, s19, -v59
	v_mul_f32_e32 v61, 0xbe750f2a, v89
	v_add_f32_e32 v25, v30, v25
	v_add_f32_e32 v43, v6, v4
	v_sub_f32_e32 v91, v4, v6
	v_mov_b32_e32 v30, v61
	v_add_f32_e32 v45, v7, v5
	v_mul_f32_e32 v63, 0xbe750f2a, v91
	v_fmac_f32_e32 v30, 0xbf788fa5, v43
	v_mul_f32_e32 v64, 0x3f7e222b, v78
	v_add_f32_e32 v24, v30, v24
	v_fma_f32 v30, v45, s18, -v63
	v_add_f32_e32 v25, v30, v25
	v_mov_b32_e32 v30, v64
	v_mul_f32_e32 v72, 0x3f7e222b, v90
	v_fmac_f32_e32 v30, 0x3df6dbef, v40
	v_add_f32_e32 v28, v30, v28
	v_fma_f32 v30, v41, s16, -v72
	v_mul_f32_e32 v67, 0x3eedf032, v89
	v_add_f32_e32 v29, v30, v29
	v_mov_b32_e32 v30, v67
	v_fmac_f32_e32 v30, 0x3f62ad3f, v43
	v_mul_f32_e32 v73, 0x3eedf032, v91
	v_mul_f32_e32 v79, 0xbf7e222b, v65
	v_fma_f32 v31, v45, s14, -v73
	v_add_f32_e32 v30, v30, v28
	v_mov_b32_e32 v28, v79
	v_mul_f32_e32 v88, 0xbe750f2a, v69
	v_add_f32_e32 v31, v31, v29
	v_fmac_f32_e32 v28, 0x3df6dbef, v32
	v_mov_b32_e32 v29, v88
	v_add_f32_e32 v28, v28, v0
	v_fmac_f32_e32 v29, 0xbf788fa5, v34
	v_mul_f32_e32 v80, 0x3f6f5d39, v71
	v_add_f32_e32 v28, v29, v28
	v_mov_b32_e32 v29, v80
	v_fmac_f32_e32 v29, 0xbeb58ec6, v36
	v_mul_f32_e32 v84, 0x3eedf032, v76
	v_add_f32_e32 v28, v29, v28
	v_mov_b32_e32 v29, v84
	;; [unrolled: 4-line block ×4, first 2 shown]
	v_fmac_f32_e32 v29, 0xbf3f9e67, v43
	v_mul_f32_e32 v96, 0xbf7e222b, v68
	v_add_f32_e32 v28, v29, v28
	v_fma_f32 v29, v33, s16, -v96
	v_mul_f32_e32 v97, 0xbe750f2a, v70
	v_add_f32_e32 v29, v29, v1
	v_fma_f32 v85, v35, s18, -v97
	;; [unrolled: 3-line block ×3, first 2 shown]
	v_mul_f32_e32 v94, 0x3eedf032, v77
	s_load_dwordx2 s[6:7], s[4:5], 0x20
	s_load_dwordx2 s[12:13], s[4:5], 0x8
	v_add_f32_e32 v29, v85, v29
	v_fma_f32 v85, v39, s14, -v94
	v_mul_f32_e32 v95, 0xbf52af12, v90
	v_add_f32_e32 v29, v85, v29
	v_fma_f32 v85, v41, s15, -v95
	v_mul_f32_e32 v92, 0xbf29c268, v91
	v_add_f32_e32 v29, v85, v29
	v_fma_f32 v85, v45, s19, -v92
	v_add_f32_e32 v29, v85, v29
	v_mul_lo_u16_e32 v85, 13, v82
	s_waitcnt lgkmcnt(0)
	s_barrier
	s_and_saveexec_b64 s[2:3], s[0:1]
	s_cbranch_execz .LBB0_7
; %bb.6:
	v_mul_f32_e32 v102, 0xbe750f2a, v68
	v_mov_b32_e32 v98, v102
	v_mul_f32_e32 v103, 0x3eedf032, v70
	v_fmac_f32_e32 v98, 0xbf788fa5, v33
	v_mov_b32_e32 v99, v103
	v_add_f32_e32 v98, v98, v1
	v_fmac_f32_e32 v99, 0x3f62ad3f, v35
	v_mul_f32_e32 v104, 0xbf29c268, v75
	v_add_f32_e32 v98, v99, v98
	v_mov_b32_e32 v99, v104
	v_fmac_f32_e32 v99, 0xbf3f9e67, v37
	v_mul_f32_e32 v105, 0x3f52af12, v77
	v_add_f32_e32 v98, v99, v98
	v_mov_b32_e32 v99, v105
	;; [unrolled: 4-line block ×4, first 2 shown]
	v_fmac_f32_e32 v99, 0x3df6dbef, v45
	v_mul_f32_e32 v108, 0xbe750f2a, v65
	v_add_f32_e32 v99, v99, v98
	v_fma_f32 v98, v32, s18, -v108
	v_mul_f32_e32 v109, 0x3eedf032, v69
	v_add_f32_e32 v98, v98, v0
	v_fma_f32 v100, v34, s14, -v109
	;; [unrolled: 3-line block ×6, first 2 shown]
	v_mul_f32_e32 v114, 0xbf29c268, v68
	v_add_f32_e32 v98, v100, v98
	v_mov_b32_e32 v100, v114
	v_mul_f32_e32 v115, 0x3f7e222b, v70
	v_fmac_f32_e32 v100, 0xbf3f9e67, v33
	v_mov_b32_e32 v101, v115
	v_add_f32_e32 v100, v100, v1
	v_fmac_f32_e32 v101, 0x3df6dbef, v35
	v_mul_f32_e32 v116, 0xbf52af12, v75
	v_add_f32_e32 v100, v101, v100
	v_mov_b32_e32 v101, v116
	v_fmac_f32_e32 v101, 0x3f116cb1, v37
	v_mul_f32_e32 v117, 0x3e750f2a, v77
	v_add_f32_e32 v100, v101, v100
	v_mov_b32_e32 v101, v117
	v_fmac_f32_e32 v101, 0xbf788fa5, v39
	v_mul_f32_e32 v118, 0x3eedf032, v90
	v_add_f32_e32 v100, v101, v100
	v_mov_b32_e32 v101, v118
	v_fmac_f32_e32 v101, 0x3f62ad3f, v41
	v_mul_f32_e32 v119, 0xbf29c268, v65
	v_add_f32_e32 v100, v101, v100
	v_fma_f32 v101, v32, s19, -v119
	v_mul_f32_e32 v120, 0x3f7e222b, v69
	v_add_f32_e32 v101, v101, v0
	v_fma_f32 v121, v34, s16, -v120
	v_add_f32_e32 v101, v121, v101
	v_mul_f32_e32 v121, 0xbf52af12, v71
	v_fma_f32 v122, v36, s15, -v121
	v_add_f32_e32 v101, v122, v101
	v_mul_f32_e32 v122, 0x3e750f2a, v76
	;; [unrolled: 3-line block ×3, first 2 shown]
	v_fma_f32 v124, v40, s14, -v123
	v_mul_f32_e32 v125, 0xbf6f5d39, v91
	v_add_f32_e32 v124, v124, v101
	v_mov_b32_e32 v101, v125
	v_fmac_f32_e32 v101, 0xbeb58ec6, v45
	v_mul_f32_e32 v126, 0xbf6f5d39, v89
	v_add_f32_e32 v101, v101, v100
	v_fma_f32 v100, v43, s17, -v126
	v_add_f32_e32 v100, v100, v124
	v_mul_f32_e32 v124, 0xbf6f5d39, v68
	v_mov_b32_e32 v68, v124
	v_mul_f32_e32 v127, 0x3f29c268, v70
	v_fmac_f32_e32 v68, 0xbeb58ec6, v33
	v_mov_b32_e32 v70, v127
	v_add_f32_e32 v68, v68, v1
	v_fmac_f32_e32 v70, 0xbf3f9e67, v35
	v_mul_f32_e32 v75, 0x3eedf032, v75
	v_add_f32_e32 v68, v70, v68
	v_mov_b32_e32 v70, v75
	v_fmac_f32_e32 v70, 0x3f62ad3f, v37
	v_mul_f32_e32 v77, 0xbf7e222b, v77
	v_add_f32_e32 v68, v70, v68
	v_mov_b32_e32 v70, v77
	;; [unrolled: 4-line block ×3, first 2 shown]
	v_fmac_f32_e32 v70, 0xbf788fa5, v41
	v_mul_f32_e32 v65, 0xbf6f5d39, v65
	v_add_f32_e32 v68, v70, v68
	v_fma_f32 v70, v32, s17, -v65
	v_mul_f32_e32 v128, 0x3f29c268, v69
	v_add_f32_e32 v70, v70, v0
	v_fma_f32 v69, v34, s19, -v128
	;; [unrolled: 3-line block ×5, first 2 shown]
	v_mul_f32_e32 v91, 0x3f52af12, v91
	v_add_f32_e32 v70, v70, v69
	v_mov_b32_e32 v69, v91
	v_fmac_f32_e32 v69, 0x3f116cb1, v45
	v_mul_f32_e32 v89, 0x3f52af12, v89
	v_add_f32_e32 v69, v69, v68
	v_fma_f32 v68, v43, s15, -v89
	v_add_f32_e32 v68, v68, v70
	v_mul_f32_e32 v70, 0x3df6dbef, v33
	v_add_f32_e32 v70, v96, v70
	v_mul_f32_e32 v71, 0xbf788fa5, v35
	v_add_f32_e32 v71, v97, v71
	v_add_f32_e32 v70, v70, v1
	;; [unrolled: 1-line block ×3, first 2 shown]
	v_mul_f32_e32 v71, 0xbeb58ec6, v37
	v_add_f32_e32 v71, v93, v71
	v_add_f32_e32 v70, v71, v70
	v_mul_f32_e32 v71, 0x3f62ad3f, v39
	v_add_f32_e32 v71, v94, v71
	v_add_f32_e32 v70, v71, v70
	v_mul_f32_e32 v71, 0x3f116cb1, v41
	v_add_f32_e32 v71, v95, v71
	v_add_f32_e32 v70, v71, v70
	v_mul_f32_e32 v71, 0xbf3f9e67, v45
	v_add_f32_e32 v71, v92, v71
	v_mul_f32_e32 v92, 0x3df6dbef, v32
	v_sub_f32_e32 v79, v92, v79
	v_mul_f32_e32 v92, 0xbf788fa5, v34
	v_sub_f32_e32 v88, v92, v88
	v_add_f32_e32 v79, v79, v0
	v_add_f32_e32 v79, v88, v79
	v_mul_f32_e32 v88, 0xbeb58ec6, v36
	v_sub_f32_e32 v80, v88, v80
	v_add_f32_e32 v79, v80, v79
	v_mul_f32_e32 v80, 0x3f62ad3f, v38
	v_sub_f32_e32 v80, v80, v84
	;; [unrolled: 3-line block ×4, first 2 shown]
	v_add_f32_e32 v71, v71, v70
	v_add_f32_e32 v70, v80, v79
	v_mul_f32_e32 v79, 0x3f116cb1, v33
	v_add_f32_e32 v53, v53, v79
	v_mul_f32_e32 v79, 0xbeb58ec6, v35
	v_add_f32_e32 v58, v58, v79
	v_add_f32_e32 v53, v53, v1
	;; [unrolled: 1-line block ×3, first 2 shown]
	v_mul_f32_e32 v58, 0xbf788fa5, v37
	v_add_f32_e32 v58, v62, v58
	v_add_f32_e32 v53, v58, v53
	v_mul_f32_e32 v58, 0xbf3f9e67, v39
	v_add_f32_e32 v58, v66, v58
	v_mul_f32_e32 v66, 0x3f116cb1, v32
	v_sub_f32_e32 v49, v66, v49
	v_mul_f32_e32 v66, 0xbeb58ec6, v34
	v_sub_f32_e32 v52, v66, v52
	v_add_f32_e32 v49, v49, v0
	v_add_f32_e32 v49, v52, v49
	v_mul_f32_e32 v52, 0xbf788fa5, v36
	v_add_f32_e32 v2, v2, v0
	v_sub_f32_e32 v52, v52, v56
	v_add_f32_e32 v3, v3, v1
	v_add_f32_e32 v2, v8, v2
	;; [unrolled: 1-line block ×3, first 2 shown]
	v_mul_f32_e32 v58, 0x3df6dbef, v41
	v_add_f32_e32 v49, v52, v49
	v_mul_f32_e32 v52, 0xbf3f9e67, v38
	v_add_f32_e32 v3, v9, v3
	v_add_f32_e32 v2, v10, v2
	;; [unrolled: 1-line block ×3, first 2 shown]
	v_sub_f32_e32 v52, v52, v60
	v_add_f32_e32 v3, v11, v3
	v_add_f32_e32 v2, v16, v2
	v_mul_f32_e32 v62, 0x3f62ad3f, v33
	v_add_f32_e32 v53, v58, v53
	v_mul_f32_e32 v58, 0x3f62ad3f, v45
	;; [unrolled: 2-line block ×3, first 2 shown]
	v_add_f32_e32 v3, v17, v3
	v_add_f32_e32 v2, v18, v2
	;; [unrolled: 1-line block ×3, first 2 shown]
	v_mul_f32_e32 v73, 0x3f116cb1, v35
	v_sub_f32_e32 v52, v52, v64
	v_add_f32_e32 v44, v44, v62
	v_add_f32_e32 v3, v19, v3
	;; [unrolled: 1-line block ×3, first 2 shown]
	v_mul_f32_e32 v56, 0x3df6dbef, v37
	v_add_f32_e32 v49, v52, v49
	v_mul_f32_e32 v52, 0x3f62ad3f, v43
	v_add_f32_e32 v44, v44, v1
	v_add_f32_e32 v47, v47, v73
	v_add_f32_e32 v3, v5, v3
	v_add_f32_e32 v2, v6, v2
	v_fma_f32 v4, v33, s18, -v102
	v_fma_f32 v6, v33, s19, -v114
	v_mul_f32_e32 v64, 0xbeb58ec6, v39
	v_sub_f32_e32 v52, v52, v67
	v_add_f32_e32 v44, v47, v44
	v_add_f32_e32 v47, v50, v56
	;; [unrolled: 1-line block ×4, first 2 shown]
	v_fma_f32 v5, v35, s14, -v103
	v_add_f32_e32 v6, v6, v1
	v_fma_f32 v7, v35, s16, -v115
	v_add_f32_e32 v52, v52, v49
	v_mul_f32_e32 v49, 0xbf3f9e67, v41
	v_add_f32_e32 v44, v47, v44
	v_add_f32_e32 v47, v55, v64
	;; [unrolled: 1-line block ×3, first 2 shown]
	v_fma_f32 v5, v37, s19, -v104
	v_add_f32_e32 v6, v7, v6
	v_fma_f32 v7, v37, s15, -v116
	v_mul_f32_e32 v79, 0x3f62ad3f, v32
	v_mul_f32_e32 v62, 0xbf788fa5, v45
	v_add_f32_e32 v44, v47, v44
	v_add_f32_e32 v47, v59, v49
	;; [unrolled: 1-line block ×3, first 2 shown]
	v_fma_f32 v5, v39, s15, -v105
	v_add_f32_e32 v6, v7, v6
	v_fma_f32 v7, v39, s18, -v117
	v_mul_f32_e32 v72, 0x3f116cb1, v34
	v_add_f32_e32 v44, v47, v44
	v_add_f32_e32 v47, v63, v62
	v_sub_f32_e32 v42, v79, v42
	v_add_f32_e32 v4, v5, v4
	v_fma_f32 v5, v41, s17, -v106
	v_add_f32_e32 v6, v7, v6
	v_fma_f32 v7, v41, s14, -v118
	v_fma_f32 v8, v33, s17, -v124
	v_mul_f32_e32 v66, 0x3df6dbef, v36
	v_add_f32_e32 v47, v47, v44
	v_add_f32_e32 v42, v42, v0
	v_sub_f32_e32 v44, v72, v46
	v_add_f32_e32 v4, v5, v4
	v_fma_f32 v5, v45, s16, -v107
	v_fmac_f32_e32 v108, 0xbf788fa5, v32
	v_add_f32_e32 v6, v7, v6
	v_fma_f32 v7, v45, s17, -v125
	v_fmac_f32_e32 v119, 0xbf3f9e67, v32
	;; [unrolled: 3-line block ×3, first 2 shown]
	v_mul_f32_e32 v60, 0xbeb58ec6, v38
	v_add_f32_e32 v42, v44, v42
	v_sub_f32_e32 v44, v66, v48
	v_add_f32_e32 v3, v13, v3
	v_add_f32_e32 v2, v12, v2
	;; [unrolled: 1-line block ×4, first 2 shown]
	v_fmac_f32_e32 v109, 0x3f62ad3f, v34
	v_add_f32_e32 v7, v7, v6
	v_add_f32_e32 v6, v119, v0
	v_fmac_f32_e32 v120, 0x3df6dbef, v34
	v_add_f32_e32 v1, v8, v1
	v_fma_f32 v8, v37, s14, -v75
	v_add_f32_e32 v0, v65, v0
	v_fmac_f32_e32 v128, 0xbf3f9e67, v34
	v_mul_f32_e32 v67, 0xbf3f9e67, v40
	v_add_f32_e32 v42, v44, v42
	v_sub_f32_e32 v44, v60, v51
	v_add_f32_e32 v3, v15, v3
	v_add_f32_e32 v2, v14, v2
	;; [unrolled: 1-line block ×3, first 2 shown]
	v_fmac_f32_e32 v110, 0xbf3f9e67, v36
	v_add_f32_e32 v6, v120, v6
	v_fmac_f32_e32 v121, 0x3f116cb1, v36
	v_add_f32_e32 v1, v8, v1
	v_fma_f32 v8, v39, s16, -v77
	v_add_f32_e32 v0, v128, v0
	v_fmac_f32_e32 v129, 0x3f62ad3f, v36
	v_add_f32_e32 v53, v58, v53
	v_mul_f32_e32 v58, 0xbf788fa5, v43
	v_add_f32_e32 v42, v44, v42
	v_sub_f32_e32 v44, v67, v57
	v_add_f32_e32 v3, v21, v3
	v_add_f32_e32 v2, v20, v2
	;; [unrolled: 1-line block ×3, first 2 shown]
	v_fmac_f32_e32 v111, 0x3f116cb1, v38
	v_add_f32_e32 v6, v121, v6
	v_fmac_f32_e32 v122, 0xbf788fa5, v38
	v_add_f32_e32 v1, v8, v1
	v_fma_f32 v8, v41, s18, -v90
	v_add_f32_e32 v0, v129, v0
	v_fmac_f32_e32 v76, 0x3df6dbef, v38
	v_add_f32_e32 v42, v44, v42
	v_sub_f32_e32 v44, v58, v61
	v_add_f32_e32 v3, v23, v3
	v_add_f32_e32 v2, v22, v2
	v_add_f32_e32 v4, v111, v4
	v_fmac_f32_e32 v112, 0xbeb58ec6, v40
	v_add_f32_e32 v6, v122, v6
	v_fmac_f32_e32 v123, 0x3f62ad3f, v40
	v_add_f32_e32 v1, v8, v1
	v_fma_f32 v8, v45, s15, -v91
	v_add_f32_e32 v0, v76, v0
	v_fmac_f32_e32 v78, 0xbf788fa5, v40
	v_add_f32_e32 v46, v44, v42
	v_add_f32_e32 v3, v27, v3
	v_add_f32_e32 v2, v26, v2
	v_add_f32_e32 v4, v112, v4
	v_fmac_f32_e32 v113, 0x3df6dbef, v43
	v_add_f32_e32 v6, v123, v6
	v_fmac_f32_e32 v126, 0xbeb58ec6, v43
	v_add_f32_e32 v1, v8, v1
	v_add_f32_e32 v0, v78, v0
	v_fmac_f32_e32 v89, 0x3f116cb1, v43
	v_add_lshl_u32 v8, v54, v85, 3
	v_add_f32_e32 v4, v113, v4
	v_add_f32_e32 v6, v126, v6
	;; [unrolled: 1-line block ×3, first 2 shown]
	ds_write2_b64 v8, v[2:3], v[46:47] offset1:1
	ds_write2_b64 v8, v[52:53], v[70:71] offset0:2 offset1:3
	ds_write2_b64 v8, v[68:69], v[100:101] offset0:4 offset1:5
	;; [unrolled: 1-line block ×5, first 2 shown]
	ds_write_b64 v8, v[24:25] offset:96
.LBB0_7:
	s_or_b64 exec, exec, s[2:3]
	v_add_lshl_u32 v84, v54, v82, 3
	v_add_u32_e32 v0, 0x800, v84
	s_waitcnt lgkmcnt(0)
	s_barrier
	ds_read2_b64 v[32:35], v84 offset1:65
	ds_read2_b64 v[36:39], v84 offset0:143 offset1:208
	ds_read2_b64 v[40:43], v0 offset0:30 offset1:95
	;; [unrolled: 1-line block ×3, first 2 shown]
	v_add_u32_e32 v0, 0x1000, v84
	ds_read2_b64 v[48:51], v0 offset0:60 offset1:125
	v_cmp_gt_u16_e64 s[2:3], 13, v82
                                        ; implicit-def: $vgpr52
	s_and_saveexec_b64 s[4:5], s[2:3]
	s_cbranch_execz .LBB0_9
; %bb.8:
	v_add_u32_e32 v0, 0x400, v84
	ds_read2_b64 v[28:31], v0 offset0:2 offset1:145
	v_add_u32_e32 v0, 0xc00, v84
	ds_read2_b64 v[24:27], v0 offset0:32 offset1:175
	ds_read_b64 v[52:53], v84 offset:5616
.LBB0_9:
	s_or_b64 exec, exec, s[4:5]
	s_movk_i32 s4, 0x4f
	v_mul_lo_u16_sdwa v0, v82, s4 dst_sel:DWORD dst_unused:UNUSED_PAD src0_sel:BYTE_0 src1_sel:DWORD
	v_lshrrev_b16_e32 v63, 10, v0
	v_mul_lo_u16_e32 v0, 13, v63
	v_sub_u16_e32 v64, v82, v0
	v_mov_b32_e32 v0, 5
	v_lshlrev_b32_sdwa v1, v0, v64 dst_sel:DWORD dst_unused:UNUSED_PAD src0_sel:DWORD src1_sel:BYTE_0
	global_load_dwordx4 v[12:15], v1, s[12:13]
	global_load_dwordx4 v[8:11], v1, s[12:13] offset:16
	v_add_u16_e32 v1, 0x41, v82
	v_mul_lo_u16_sdwa v2, v1, s4 dst_sel:DWORD dst_unused:UNUSED_PAD src0_sel:BYTE_0 src1_sel:DWORD
	v_lshrrev_b16_e32 v65, 10, v2
	v_mul_lo_u16_e32 v2, 13, v65
	v_sub_u16_e32 v66, v1, v2
	v_lshlrev_b32_sdwa v0, v0, v66 dst_sel:DWORD dst_unused:UNUSED_PAD src0_sel:DWORD src1_sel:BYTE_0
	global_load_dwordx4 v[20:23], v0, s[12:13]
	global_load_dwordx4 v[16:19], v0, s[12:13] offset:16
	v_add_u16_e32 v0, 0x82, v82
	v_mul_lo_u16_sdwa v1, v0, s4 dst_sel:DWORD dst_unused:UNUSED_PAD src0_sel:BYTE_0 src1_sel:DWORD
	v_lshrrev_b16_e32 v1, 10, v1
	v_mul_lo_u16_e32 v1, 13, v1
	v_sub_u16_e32 v86, v0, v1
	v_lshlrev_b16_e32 v0, 2, v86
	v_and_b32_e32 v0, 0xfc, v0
	v_lshlrev_b32_e32 v55, 3, v0
	global_load_dwordx4 v[4:7], v55, s[12:13]
	global_load_dwordx4 v[0:3], v55, s[12:13] offset:16
	v_mul_u32_u24_e32 v63, 0x41, v63
	s_load_dwordx4 s[4:7], s[6:7], 0x0
	v_add_u32_sdwa v63, v63, v64 dst_sel:DWORD dst_unused:UNUSED_PAD src0_sel:DWORD src1_sel:BYTE_0
	v_add_lshl_u32 v88, v54, v63, 3
	s_waitcnt vmcnt(0) lgkmcnt(0)
	s_barrier
	v_mul_f32_e32 v55, v37, v13
	v_mul_f32_e32 v57, v41, v15
	;; [unrolled: 1-line block ×4, first 2 shown]
	v_fma_f32 v55, v36, v12, -v55
	v_mul_f32_e32 v56, v36, v13
	v_mul_f32_e32 v60, v44, v9
	;; [unrolled: 1-line block ×7, first 2 shown]
	v_fma_f32 v57, v40, v14, -v57
	v_fmac_f32_e32 v58, v41, v14
	v_fma_f32 v59, v44, v8, -v59
	v_add_f32_e32 v44, v32, v55
	v_mul_f32_e32 v36, v30, v5
	v_mul_f32_e32 v41, v25, v7
	;; [unrolled: 1-line block ×4, first 2 shown]
	v_fmac_f32_e32 v56, v37, v12
	v_fmac_f32_e32 v60, v45, v8
	v_fma_f32 v45, v48, v10, -v61
	v_fmac_f32_e32 v62, v49, v10
	v_fma_f32 v48, v38, v20, -v67
	v_fma_f32 v49, v42, v22, -v69
	;; [unrolled: 1-line block ×3, first 2 shown]
	v_mul_f32_e32 v40, v31, v5
	v_mul_f32_e32 v37, v24, v7
	;; [unrolled: 1-line block ×3, first 2 shown]
	v_add_f32_e32 v46, v57, v59
	v_fmac_f32_e32 v36, v31, v4
	v_fma_f32 v31, v24, v6, -v41
	v_add_f32_e32 v24, v44, v57
	v_fma_f32 v30, v30, v4, -v40
	v_fma_f32 v40, v26, v0, -v42
	v_fma_f32 v42, -0.5, v46, v32
	v_add_f32_e32 v24, v24, v59
	v_mul_f32_e32 v75, v50, v19
	v_fmac_f32_e32 v72, v47, v16
	v_sub_f32_e32 v47, v56, v62
	v_mov_b32_e32 v44, v42
	v_add_f32_e32 v46, v24, v45
	v_add_f32_e32 v24, v55, v45
	v_mul_f32_e32 v68, v38, v21
	v_mul_f32_e32 v73, v51, v19
	v_fmac_f32_e32 v70, v43, v22
	v_fmac_f32_e32 v75, v51, v18
	v_mul_f32_e32 v43, v53, v3
	v_sub_f32_e32 v51, v58, v60
	v_sub_f32_e32 v61, v55, v57
	;; [unrolled: 1-line block ×3, first 2 shown]
	v_fmac_f32_e32 v42, 0xbf737871, v47
	v_fmac_f32_e32 v44, 0x3f737871, v47
	v_fma_f32 v32, -0.5, v24, v32
	v_fmac_f32_e32 v68, v39, v20
	v_mul_f32_e32 v39, v52, v3
	v_fmac_f32_e32 v37, v25, v6
	v_fma_f32 v41, v52, v2, -v43
	v_add_f32_e32 v25, v61, v69
	v_fmac_f32_e32 v42, 0xbf167918, v51
	v_fmac_f32_e32 v44, 0x3f167918, v51
	v_mov_b32_e32 v52, v32
	v_fmac_f32_e32 v42, 0x3e9e377a, v25
	v_fmac_f32_e32 v44, 0x3e9e377a, v25
	;; [unrolled: 1-line block ×3, first 2 shown]
	v_sub_f32_e32 v24, v57, v55
	v_sub_f32_e32 v25, v59, v45
	v_fmac_f32_e32 v32, 0x3f737871, v51
	v_fmac_f32_e32 v52, 0x3f167918, v47
	v_add_f32_e32 v24, v24, v25
	v_fmac_f32_e32 v32, 0xbf167918, v47
	v_fmac_f32_e32 v52, 0x3e9e377a, v24
	;; [unrolled: 1-line block ×3, first 2 shown]
	v_add_f32_e32 v24, v33, v56
	v_add_f32_e32 v24, v24, v58
	v_add_f32_e32 v24, v24, v60
	v_add_f32_e32 v47, v24, v62
	v_add_f32_e32 v24, v58, v60
	v_fma_f32 v43, -0.5, v24, v33
	v_mul_f32_e32 v38, v26, v1
	v_sub_f32_e32 v24, v55, v45
	v_mov_b32_e32 v45, v43
	v_fmac_f32_e32 v38, v27, v0
	v_fmac_f32_e32 v45, 0xbf737871, v24
	v_sub_f32_e32 v25, v57, v59
	v_sub_f32_e32 v26, v56, v58
	;; [unrolled: 1-line block ×3, first 2 shown]
	v_fmac_f32_e32 v43, 0x3f737871, v24
	v_fmac_f32_e32 v45, 0xbf167918, v25
	v_add_f32_e32 v26, v26, v27
	v_fmac_f32_e32 v43, 0x3f167918, v25
	v_fmac_f32_e32 v45, 0x3e9e377a, v26
	;; [unrolled: 1-line block ×3, first 2 shown]
	v_add_f32_e32 v26, v56, v62
	v_fma_f32 v33, -0.5, v26, v33
	v_fmac_f32_e32 v39, v53, v2
	v_mov_b32_e32 v53, v33
	v_fmac_f32_e32 v53, 0x3f737871, v25
	v_fmac_f32_e32 v33, 0xbf737871, v25
	;; [unrolled: 1-line block ×4, first 2 shown]
	v_add_f32_e32 v24, v34, v48
	v_add_f32_e32 v24, v24, v49
	v_fma_f32 v50, v50, v18, -v73
	v_add_f32_e32 v24, v24, v67
	v_add_f32_e32 v55, v24, v50
	;; [unrolled: 1-line block ×3, first 2 shown]
	v_sub_f32_e32 v26, v58, v56
	v_sub_f32_e32 v27, v60, v62
	v_fma_f32 v57, -0.5, v24, v34
	v_add_f32_e32 v26, v26, v27
	v_sub_f32_e32 v24, v68, v75
	v_mov_b32_e32 v59, v57
	v_fmac_f32_e32 v53, 0x3e9e377a, v26
	v_fmac_f32_e32 v33, 0x3e9e377a, v26
	;; [unrolled: 1-line block ×3, first 2 shown]
	v_sub_f32_e32 v25, v70, v72
	v_sub_f32_e32 v26, v48, v49
	;; [unrolled: 1-line block ×3, first 2 shown]
	v_fmac_f32_e32 v57, 0xbf737871, v24
	v_fmac_f32_e32 v59, 0x3f167918, v25
	v_add_f32_e32 v26, v26, v27
	v_fmac_f32_e32 v57, 0xbf167918, v25
	v_fmac_f32_e32 v59, 0x3e9e377a, v26
	;; [unrolled: 1-line block ×3, first 2 shown]
	v_add_f32_e32 v26, v48, v50
	v_fma_f32 v34, -0.5, v26, v34
	v_mov_b32_e32 v61, v34
	v_fmac_f32_e32 v61, 0xbf737871, v25
	v_fmac_f32_e32 v34, 0x3f737871, v25
	;; [unrolled: 1-line block ×4, first 2 shown]
	v_add_f32_e32 v24, v35, v68
	v_add_f32_e32 v24, v24, v70
	;; [unrolled: 1-line block ×5, first 2 shown]
	v_sub_f32_e32 v26, v49, v48
	v_sub_f32_e32 v27, v67, v50
	v_fma_f32 v58, -0.5, v24, v35
	v_add_f32_e32 v26, v26, v27
	v_sub_f32_e32 v24, v48, v50
	v_mov_b32_e32 v60, v58
	v_fmac_f32_e32 v61, 0x3e9e377a, v26
	v_fmac_f32_e32 v34, 0x3e9e377a, v26
	;; [unrolled: 1-line block ×3, first 2 shown]
	v_sub_f32_e32 v25, v49, v67
	v_sub_f32_e32 v26, v68, v70
	;; [unrolled: 1-line block ×3, first 2 shown]
	v_fmac_f32_e32 v58, 0x3f737871, v24
	v_fmac_f32_e32 v60, 0xbf167918, v25
	v_add_f32_e32 v26, v26, v27
	v_fmac_f32_e32 v58, 0x3f167918, v25
	v_fmac_f32_e32 v60, 0x3e9e377a, v26
	;; [unrolled: 1-line block ×3, first 2 shown]
	v_add_f32_e32 v26, v68, v75
	v_fmac_f32_e32 v35, -0.5, v26
	v_mov_b32_e32 v62, v35
	v_fmac_f32_e32 v62, 0x3f737871, v25
	v_sub_f32_e32 v26, v70, v68
	v_sub_f32_e32 v27, v72, v75
	v_fmac_f32_e32 v35, 0xbf737871, v25
	v_fmac_f32_e32 v62, 0xbf167918, v24
	v_add_f32_e32 v26, v26, v27
	v_fmac_f32_e32 v35, 0x3f167918, v24
	v_add_f32_e32 v24, v31, v40
	v_fmac_f32_e32 v62, 0x3e9e377a, v26
	v_fmac_f32_e32 v35, 0x3e9e377a, v26
	v_fma_f32 v26, -0.5, v24, v28
	v_sub_f32_e32 v25, v36, v39
	v_mov_b32_e32 v48, v26
	v_fmac_f32_e32 v48, 0x3f737871, v25
	v_sub_f32_e32 v27, v37, v38
	v_sub_f32_e32 v24, v30, v31
	;; [unrolled: 1-line block ×3, first 2 shown]
	v_fmac_f32_e32 v26, 0xbf737871, v25
	v_fmac_f32_e32 v48, 0x3f167918, v27
	v_add_f32_e32 v24, v24, v49
	v_fmac_f32_e32 v26, 0xbf167918, v27
	v_fmac_f32_e32 v48, 0x3e9e377a, v24
	v_fmac_f32_e32 v26, 0x3e9e377a, v24
	v_add_f32_e32 v24, v30, v41
	v_fma_f32 v24, -0.5, v24, v28
	v_mov_b32_e32 v50, v24
	v_fmac_f32_e32 v50, 0xbf737871, v27
	v_fmac_f32_e32 v24, 0x3f737871, v27
	;; [unrolled: 1-line block ×3, first 2 shown]
	v_sub_f32_e32 v49, v31, v30
	v_sub_f32_e32 v51, v40, v41
	v_fmac_f32_e32 v24, 0xbf167918, v25
	v_add_f32_e32 v25, v37, v38
	v_add_f32_e32 v49, v49, v51
	v_fma_f32 v27, -0.5, v25, v29
	v_fmac_f32_e32 v50, 0x3e9e377a, v49
	v_fmac_f32_e32 v24, 0x3e9e377a, v49
	v_sub_f32_e32 v67, v30, v41
	v_mov_b32_e32 v49, v27
	v_fmac_f32_e32 v49, 0xbf737871, v67
	v_sub_f32_e32 v68, v31, v40
	v_sub_f32_e32 v25, v36, v37
	;; [unrolled: 1-line block ×3, first 2 shown]
	v_fmac_f32_e32 v27, 0x3f737871, v67
	v_fmac_f32_e32 v49, 0xbf167918, v68
	v_add_f32_e32 v25, v25, v51
	v_fmac_f32_e32 v27, 0x3f167918, v68
	v_fmac_f32_e32 v49, 0x3e9e377a, v25
	;; [unrolled: 1-line block ×3, first 2 shown]
	v_add_f32_e32 v25, v36, v39
	v_fma_f32 v25, -0.5, v25, v29
	v_mov_b32_e32 v51, v25
	v_fmac_f32_e32 v51, 0x3f737871, v68
	v_sub_f32_e32 v69, v37, v36
	v_sub_f32_e32 v70, v38, v39
	v_fmac_f32_e32 v25, 0xbf737871, v68
	ds_write2_b64 v88, v[46:47], v[44:45] offset1:13
	ds_write2_b64 v88, v[52:53], v[32:33] offset0:26 offset1:39
	ds_write_b64 v88, v[42:43] offset:416
	v_mul_u32_u24_e32 v32, 0x41, v65
	v_fmac_f32_e32 v51, 0xbf167918, v67
	v_add_f32_e32 v69, v69, v70
	v_fmac_f32_e32 v25, 0x3f167918, v67
	v_add_u32_sdwa v32, v32, v66 dst_sel:DWORD dst_unused:UNUSED_PAD src0_sel:DWORD src1_sel:BYTE_0
	v_fmac_f32_e32 v51, 0x3e9e377a, v69
	v_fmac_f32_e32 v25, 0x3e9e377a, v69
	v_add_lshl_u32 v89, v54, v32, 3
	ds_write2_b64 v89, v[55:56], v[59:60] offset1:13
	ds_write2_b64 v89, v[61:62], v[34:35] offset0:26 offset1:39
	ds_write_b64 v89, v[57:58] offset:416
	s_and_saveexec_b64 s[14:15], s[2:3]
	s_cbranch_execz .LBB0_11
; %bb.10:
	v_add_f32_e32 v29, v29, v36
	v_add_f32_e32 v28, v28, v30
	;; [unrolled: 1-line block ×4, first 2 shown]
	v_and_b32_e32 v30, 0xff, v86
	v_add_f32_e32 v29, v29, v38
	v_add_f32_e32 v28, v28, v40
	v_add_lshl_u32 v30, v54, v30, 3
	v_add_f32_e32 v29, v29, v39
	v_add_f32_e32 v28, v28, v41
	v_add_u32_e32 v31, 0x1000, v30
	ds_write2_b64 v31, v[28:29], v[48:49] offset0:138 offset1:151
	ds_write2_b64 v31, v[50:51], v[24:25] offset0:164 offset1:177
	ds_write_b64 v30, v[26:27] offset:5616
.LBB0_11:
	s_or_b64 exec, exec, s[14:15]
	v_mov_b32_e32 v29, s13
	s_movk_i32 s14, 0x50
	v_mov_b32_e32 v28, s12
	v_mad_u64_u32 v[52:53], s[12:13], v82, s14, v[28:29]
	s_waitcnt lgkmcnt(0)
	s_barrier
	global_load_dwordx4 v[40:43], v[52:53], off offset:416
	global_load_dwordx4 v[36:39], v[52:53], off offset:432
	;; [unrolled: 1-line block ×5, first 2 shown]
	ds_read2_b64 v[52:55], v84 offset1:65
	ds_read2_b64 v[56:59], v84 offset0:130 offset1:195
	v_add_u32_e32 v64, 0x800, v84
	v_add_u32_e32 v68, 0x1000, v84
	ds_read_b64 v[72:73], v84 offset:5200
	ds_read2_b64 v[60:63], v64 offset0:4 offset1:69
	ds_read2_b64 v[64:67], v64 offset0:134 offset1:199
	;; [unrolled: 1-line block ×3, first 2 shown]
	s_mov_b32 s12, 0x3f575c64
	s_mov_b32 s13, 0x3ed4b147
	s_mov_b32 s14, 0xbe11bafb
	s_mov_b32 s15, 0xbf27a4f4
	s_mov_b32 s16, 0xbf75a155
	s_waitcnt vmcnt(4) lgkmcnt(5)
	v_mul_f32_e32 v75, v55, v41
	v_mul_f32_e32 v76, v54, v41
	s_waitcnt lgkmcnt(4)
	v_mul_f32_e32 v77, v57, v43
	s_waitcnt vmcnt(3)
	v_mul_f32_e32 v80, v58, v37
	s_waitcnt vmcnt(2) lgkmcnt(1)
	v_mul_f32_e32 v93, v65, v35
	v_fma_f32 v54, v54, v40, -v75
	v_mul_f32_e32 v78, v56, v43
	v_mul_f32_e32 v79, v59, v37
	;; [unrolled: 1-line block ×3, first 2 shown]
	v_fmac_f32_e32 v76, v55, v40
	v_fma_f32 v55, v56, v42, -v77
	v_fmac_f32_e32 v80, v59, v36
	v_fma_f32 v59, v64, v34, -v93
	v_add_f32_e32 v64, v52, v54
	v_mul_f32_e32 v87, v61, v39
	v_fmac_f32_e32 v78, v57, v42
	v_fma_f32 v56, v58, v36, -v79
	v_fmac_f32_e32 v94, v65, v34
	v_add_f32_e32 v65, v53, v76
	v_add_f32_e32 v64, v64, v55
	v_mul_f32_e32 v90, v60, v39
	v_mul_f32_e32 v91, v63, v33
	v_fma_f32 v57, v60, v38, -v87
	v_add_f32_e32 v65, v65, v78
	v_add_f32_e32 v64, v64, v56
	v_mul_f32_e32 v92, v62, v33
	v_fmac_f32_e32 v90, v61, v38
	v_fma_f32 v58, v62, v32, -v91
	v_add_f32_e32 v65, v65, v80
	v_add_f32_e32 v64, v64, v57
	s_waitcnt vmcnt(1)
	v_mul_f32_e32 v95, v67, v29
	v_fmac_f32_e32 v92, v63, v32
	v_add_f32_e32 v65, v65, v90
	v_add_f32_e32 v64, v64, v58
	v_mul_f32_e32 v96, v66, v29
	s_waitcnt lgkmcnt(0)
	v_mul_f32_e32 v97, v69, v31
	v_fma_f32 v60, v66, v28, -v95
	v_add_f32_e32 v65, v65, v92
	v_add_f32_e32 v64, v64, v59
	v_mul_f32_e32 v98, v68, v31
	s_waitcnt vmcnt(0)
	v_mul_f32_e32 v99, v71, v45
	v_mul_f32_e32 v101, v73, v47
	v_fmac_f32_e32 v96, v67, v28
	v_fma_f32 v61, v68, v30, -v97
	v_add_f32_e32 v65, v65, v94
	v_add_f32_e32 v64, v64, v60
	v_mul_f32_e32 v100, v70, v45
	v_fmac_f32_e32 v98, v69, v30
	v_fma_f32 v62, v70, v44, -v99
	v_fma_f32 v63, v72, v46, -v101
	v_add_f32_e32 v65, v65, v96
	v_add_f32_e32 v64, v64, v61
	v_mul_f32_e32 v102, v72, v47
	v_fmac_f32_e32 v100, v71, v44
	v_add_f32_e32 v66, v54, v63
	v_sub_f32_e32 v54, v54, v63
	v_add_f32_e32 v65, v65, v98
	v_add_f32_e32 v64, v64, v62
	v_fmac_f32_e32 v102, v73, v46
	v_mul_f32_e32 v70, 0xbf0a6770, v54
	v_add_f32_e32 v65, v65, v100
	v_add_f32_e32 v75, v64, v63
	v_mul_f32_e32 v64, 0xbf68dda4, v54
	v_mul_f32_e32 v87, 0xbf7d64f0, v54
	;; [unrolled: 1-line block ×4, first 2 shown]
	v_add_f32_e32 v67, v76, v102
	v_sub_f32_e32 v68, v76, v102
	v_mov_b32_e32 v73, v70
	v_add_f32_e32 v76, v65, v102
	v_mov_b32_e32 v65, v64
	v_mov_b32_e32 v91, v87
	;; [unrolled: 1-line block ×4, first 2 shown]
	v_fma_f32 v70, v67, s12, -v70
	v_fmac_f32_e32 v73, 0x3f575c64, v67
	v_fmac_f32_e32 v65, 0x3ed4b147, v67
	v_fma_f32 v64, v67, s13, -v64
	v_fmac_f32_e32 v91, 0xbe11bafb, v67
	v_fma_f32 v87, v67, s14, -v87
	;; [unrolled: 2-line block ×4, first 2 shown]
	v_mul_f32_e32 v69, 0xbf0a6770, v68
	v_mul_f32_e32 v71, 0xbf68dda4, v68
	v_add_f32_e32 v70, v53, v70
	v_add_f32_e32 v73, v53, v73
	;; [unrolled: 1-line block ×4, first 2 shown]
	v_mul_f32_e32 v77, 0xbf7d64f0, v68
	v_add_f32_e32 v91, v53, v91
	v_add_f32_e32 v87, v53, v87
	v_mul_f32_e32 v93, 0xbf4178ce, v68
	v_add_f32_e32 v99, v53, v99
	v_add_f32_e32 v97, v53, v97
	;; [unrolled: 3-line block ×3, first 2 shown]
	v_add_f32_e32 v54, v55, v62
	v_sub_f32_e32 v55, v55, v62
	v_sub_f32_e32 v62, v78, v100
	v_fma_f32 v72, v66, s12, -v69
	v_fmac_f32_e32 v69, 0x3f575c64, v66
	v_fma_f32 v63, v66, s13, -v71
	v_fmac_f32_e32 v71, 0x3ed4b147, v66
	;; [unrolled: 2-line block ×5, first 2 shown]
	v_mul_f32_e32 v67, 0xbf68dda4, v62
	v_add_f32_e32 v72, v52, v72
	v_add_f32_e32 v69, v52, v69
	;; [unrolled: 1-line block ×10, first 2 shown]
	v_fma_f32 v68, v54, s13, -v67
	v_add_f32_e32 v66, v78, v100
	v_add_f32_e32 v68, v68, v72
	v_mul_f32_e32 v72, 0xbf68dda4, v55
	v_fmac_f32_e32 v67, 0x3ed4b147, v54
	v_add_f32_e32 v67, v67, v69
	v_fma_f32 v69, v66, s13, -v72
	v_add_f32_e32 v69, v69, v70
	v_mul_f32_e32 v70, 0xbf4178ce, v62
	v_mov_b32_e32 v78, v72
	v_fma_f32 v72, v54, s15, -v70
	v_fmac_f32_e32 v78, 0x3ed4b147, v66
	v_add_f32_e32 v63, v72, v63
	v_mul_f32_e32 v72, 0xbf4178ce, v55
	v_fmac_f32_e32 v70, 0xbf27a4f4, v54
	v_add_f32_e32 v73, v78, v73
	v_mov_b32_e32 v78, v72
	v_add_f32_e32 v70, v70, v71
	v_fma_f32 v71, v66, s15, -v72
	v_fmac_f32_e32 v78, 0xbf27a4f4, v66
	v_add_f32_e32 v64, v71, v64
	v_mul_f32_e32 v71, 0x3e903f40, v62
	v_add_f32_e32 v65, v78, v65
	v_fma_f32 v72, v54, s16, -v71
	v_mul_f32_e32 v78, 0x3e903f40, v55
	v_add_f32_e32 v72, v72, v79
	v_mov_b32_e32 v79, v78
	v_fmac_f32_e32 v71, 0xbf75a155, v54
	v_fmac_f32_e32 v79, 0xbf75a155, v66
	v_add_f32_e32 v71, v71, v77
	v_fma_f32 v77, v66, s16, -v78
	v_mul_f32_e32 v78, 0x3f7d64f0, v62
	v_add_f32_e32 v79, v79, v91
	v_add_f32_e32 v77, v77, v87
	v_fma_f32 v87, v54, s14, -v78
	v_mul_f32_e32 v91, 0x3f7d64f0, v55
	v_fmac_f32_e32 v78, 0xbe11bafb, v54
	v_mul_f32_e32 v62, 0x3f0a6770, v62
	v_mul_f32_e32 v55, 0x3f0a6770, v55
	v_add_f32_e32 v78, v78, v93
	v_fma_f32 v93, v54, s12, -v62
	v_fmac_f32_e32 v62, 0x3f575c64, v54
	v_fma_f32 v54, v66, s12, -v55
	v_add_f32_e32 v87, v87, v95
	v_mov_b32_e32 v95, v91
	v_fma_f32 v91, v66, s14, -v91
	v_add_f32_e32 v53, v54, v53
	v_add_f32_e32 v54, v56, v61
	v_sub_f32_e32 v56, v56, v61
	v_sub_f32_e32 v61, v80, v98
	v_add_f32_e32 v91, v91, v97
	v_mov_b32_e32 v97, v55
	v_add_f32_e32 v52, v62, v52
	v_mul_f32_e32 v62, 0xbf7d64f0, v61
	v_fmac_f32_e32 v95, 0xbe11bafb, v66
	v_fmac_f32_e32 v97, 0x3f575c64, v66
	v_fma_f32 v66, v54, s14, -v62
	v_add_f32_e32 v55, v80, v98
	v_add_f32_e32 v66, v66, v68
	v_mul_f32_e32 v68, 0xbf7d64f0, v56
	v_fmac_f32_e32 v62, 0xbe11bafb, v54
	v_mov_b32_e32 v80, v68
	v_add_f32_e32 v62, v62, v67
	v_fma_f32 v67, v55, s14, -v68
	v_mul_f32_e32 v68, 0x3e903f40, v61
	v_add_f32_e32 v67, v67, v69
	v_fma_f32 v69, v54, s16, -v68
	v_fmac_f32_e32 v80, 0xbe11bafb, v55
	v_add_f32_e32 v63, v69, v63
	v_mul_f32_e32 v69, 0x3e903f40, v56
	v_add_f32_e32 v73, v80, v73
	v_mov_b32_e32 v80, v69
	v_fma_f32 v69, v55, s16, -v69
	v_fmac_f32_e32 v68, 0xbf75a155, v54
	v_add_f32_e32 v64, v69, v64
	v_mul_f32_e32 v69, 0x3f68dda4, v61
	v_add_f32_e32 v68, v68, v70
	v_fma_f32 v70, v54, s13, -v69
	v_fmac_f32_e32 v80, 0xbf75a155, v55
	v_add_f32_e32 v70, v70, v72
	v_mul_f32_e32 v72, 0x3f68dda4, v56
	v_add_f32_e32 v65, v80, v65
	v_mov_b32_e32 v80, v72
	v_fmac_f32_e32 v69, 0x3ed4b147, v54
	v_fmac_f32_e32 v80, 0x3ed4b147, v55
	v_add_f32_e32 v69, v69, v71
	v_fma_f32 v71, v55, s13, -v72
	v_mul_f32_e32 v72, 0xbf0a6770, v61
	v_add_f32_e32 v79, v80, v79
	v_add_f32_e32 v71, v71, v77
	v_fma_f32 v77, v54, s12, -v72
	v_mul_f32_e32 v80, 0xbf0a6770, v56
	v_fmac_f32_e32 v72, 0x3f575c64, v54
	v_mul_f32_e32 v61, 0xbf4178ce, v61
	v_mul_f32_e32 v56, 0xbf4178ce, v56
	v_add_f32_e32 v77, v77, v87
	v_mov_b32_e32 v87, v80
	v_add_f32_e32 v72, v72, v78
	v_fma_f32 v78, v55, s12, -v80
	v_fma_f32 v80, v54, s15, -v61
	v_fmac_f32_e32 v61, 0xbf27a4f4, v54
	v_fma_f32 v54, v55, s15, -v56
	v_add_f32_e32 v78, v78, v91
	v_mov_b32_e32 v91, v56
	v_add_f32_e32 v53, v54, v53
	v_add_f32_e32 v54, v57, v60
	v_sub_f32_e32 v56, v57, v60
	v_sub_f32_e32 v57, v90, v96
	v_mul_f32_e32 v60, 0xbf4178ce, v57
	v_add_f32_e32 v52, v61, v52
	v_fma_f32 v61, v54, s15, -v60
	v_fmac_f32_e32 v87, 0x3f575c64, v55
	v_fmac_f32_e32 v91, 0xbf27a4f4, v55
	v_add_f32_e32 v55, v90, v96
	v_add_f32_e32 v61, v61, v66
	v_mul_f32_e32 v66, 0xbf4178ce, v56
	v_fmac_f32_e32 v60, 0xbf27a4f4, v54
	v_add_f32_e32 v60, v60, v62
	v_fma_f32 v62, v55, s15, -v66
	v_mov_b32_e32 v90, v66
	v_add_f32_e32 v66, v62, v67
	v_mul_f32_e32 v62, 0x3f7d64f0, v57
	v_fma_f32 v67, v54, s14, -v62
	v_add_f32_e32 v67, v67, v63
	v_mul_f32_e32 v63, 0x3f7d64f0, v56
	v_fmac_f32_e32 v62, 0xbe11bafb, v54
	v_add_f32_e32 v68, v62, v68
	v_fma_f32 v62, v55, s14, -v63
	v_fmac_f32_e32 v90, 0xbf27a4f4, v55
	v_add_f32_e32 v64, v62, v64
	v_mul_f32_e32 v62, 0xbf0a6770, v57
	v_add_f32_e32 v73, v90, v73
	v_mov_b32_e32 v90, v63
	v_fma_f32 v63, v54, s12, -v62
	v_add_f32_e32 v70, v63, v70
	v_mul_f32_e32 v63, 0xbf0a6770, v56
	v_fmac_f32_e32 v62, 0x3f575c64, v54
	v_add_f32_e32 v69, v62, v69
	v_fma_f32 v62, v55, s12, -v63
	v_fmac_f32_e32 v90, 0xbe11bafb, v55
	v_add_f32_e32 v71, v62, v71
	v_mul_f32_e32 v62, 0xbe903f40, v57
	v_add_f32_e32 v65, v90, v65
	v_mov_b32_e32 v90, v63
	v_fma_f32 v63, v54, s16, -v62
	v_add_f32_e32 v77, v63, v77
	v_mul_f32_e32 v63, 0xbe903f40, v56
	v_fmac_f32_e32 v62, 0xbf75a155, v54
	v_add_f32_e32 v93, v93, v101
	v_add_f32_e32 v72, v62, v72
	v_fma_f32 v62, v55, s16, -v63
	v_mul_f32_e32 v57, 0x3f68dda4, v57
	v_add_f32_e32 v80, v80, v93
	v_fmac_f32_e32 v90, 0x3f575c64, v55
	v_add_f32_e32 v78, v62, v78
	v_fma_f32 v62, v54, s13, -v57
	v_mul_f32_e32 v56, 0x3f68dda4, v56
	v_add_f32_e32 v95, v95, v99
	v_add_f32_e32 v97, v97, v102
	;; [unrolled: 1-line block ×3, first 2 shown]
	v_mov_b32_e32 v90, v63
	v_add_f32_e32 v80, v62, v80
	v_mov_b32_e32 v62, v56
	v_add_f32_e32 v87, v87, v95
	v_add_f32_e32 v91, v91, v97
	v_fmac_f32_e32 v90, 0xbf75a155, v55
	v_fmac_f32_e32 v62, 0x3ed4b147, v55
	v_fmac_f32_e32 v57, 0x3ed4b147, v54
	v_add_f32_e32 v96, v92, v94
	v_sub_f32_e32 v92, v92, v94
	v_add_f32_e32 v87, v90, v87
	v_add_f32_e32 v90, v62, v91
	;; [unrolled: 1-line block ×3, first 2 shown]
	v_fma_f32 v52, v55, s13, -v56
	v_add_f32_e32 v95, v58, v59
	v_sub_f32_e32 v97, v58, v59
	v_mul_f32_e32 v54, 0xbe903f40, v92
	v_add_f32_e32 v93, v52, v53
	v_fma_f32 v52, v95, s16, -v54
	v_mul_f32_e32 v55, 0xbe903f40, v97
	v_fmac_f32_e32 v54, 0xbf75a155, v95
	v_add_f32_e32 v62, v54, v60
	v_fma_f32 v54, v96, s16, -v55
	v_mul_f32_e32 v56, 0x3f0a6770, v92
	v_mul_f32_e32 v57, 0x3f0a6770, v97
	v_mov_b32_e32 v53, v55
	v_add_f32_e32 v63, v54, v66
	v_fma_f32 v54, v95, s12, -v56
	v_mov_b32_e32 v55, v57
	v_fmac_f32_e32 v56, 0x3f575c64, v95
	v_fmac_f32_e32 v55, 0x3f575c64, v96
	v_add_f32_e32 v60, v56, v68
	v_fma_f32 v56, v96, s12, -v57
	v_mul_f32_e32 v58, 0xbf4178ce, v92
	v_add_f32_e32 v52, v52, v61
	v_add_f32_e32 v55, v55, v65
	v_add_f32_e32 v61, v56, v64
	v_fma_f32 v56, v95, s15, -v58
	v_mul_f32_e32 v59, 0xbf4178ce, v97
	v_fmac_f32_e32 v58, 0xbf27a4f4, v95
	v_mul_f32_e32 v65, 0x3f68dda4, v97
	v_mov_b32_e32 v57, v59
	v_add_f32_e32 v66, v58, v69
	v_fma_f32 v58, v96, s15, -v59
	v_mov_b32_e32 v59, v65
	v_add_f32_e32 v54, v54, v67
	v_add_f32_e32 v67, v58, v71
	v_mul_f32_e32 v64, 0x3f68dda4, v92
	v_fmac_f32_e32 v59, 0x3ed4b147, v96
	v_mul_f32_e32 v71, 0xbf7d64f0, v97
	v_add_f32_e32 v56, v56, v70
	v_fmac_f32_e32 v57, 0xbf27a4f4, v96
	v_fma_f32 v58, v95, s13, -v64
	v_add_f32_e32 v59, v59, v87
	v_fmac_f32_e32 v64, 0x3ed4b147, v95
	v_mul_f32_e32 v70, 0xbf7d64f0, v92
	v_mov_b32_e32 v69, v71
	v_lshl_add_u32 v87, v82, 3, v83
	v_fmac_f32_e32 v53, 0xbf75a155, v96
	v_add_f32_e32 v57, v57, v79
	v_add_f32_e32 v58, v58, v77
	;; [unrolled: 1-line block ×3, first 2 shown]
	v_fma_f32 v65, v96, s13, -v65
	v_fma_f32 v68, v95, s14, -v70
	v_fmac_f32_e32 v69, 0xbe11bafb, v96
	v_fmac_f32_e32 v70, 0xbe11bafb, v95
	v_fma_f32 v71, v96, s14, -v71
	v_add_u32_e32 v72, 0x400, v87
	v_add_f32_e32 v53, v53, v73
	v_add_f32_e32 v65, v65, v78
	;; [unrolled: 1-line block ×6, first 2 shown]
	ds_write_b64 v87, v[75:76]
	ds_write2_b64 v87, v[52:53], v[54:55] offset0:65 offset1:130
	ds_write2_b64 v72, v[56:57], v[58:59] offset0:67 offset1:132
	v_add_u32_e32 v72, 0x800, v87
	v_add_u32_e32 v77, 0xc00, v87
	;; [unrolled: 1-line block ×3, first 2 shown]
	ds_write2_b64 v72, v[68:69], v[70:71] offset0:69 offset1:134
	ds_write2_b64 v77, v[64:65], v[66:67] offset0:71 offset1:136
	;; [unrolled: 1-line block ×3, first 2 shown]
	s_waitcnt lgkmcnt(0)
	s_barrier
	s_and_saveexec_b64 s[12:13], s[0:1]
	s_cbranch_execz .LBB0_13
; %bb.12:
	v_mov_b32_e32 v78, s9
	v_add_co_u32_e32 v80, vcc, s8, v81
	v_addc_co_u32_e32 v94, vcc, 0, v78, vcc
	v_add_co_u32_e32 v78, vcc, 0x1658, v80
	v_addc_co_u32_e32 v79, vcc, 0, v94, vcc
	;; [unrolled: 2-line block ×3, first 2 shown]
	global_load_dwordx2 v[92:93], v[90:91], off offset:1624
	global_load_dwordx2 v[114:115], v[78:79], off offset:440
	;; [unrolled: 1-line block ×3, first 2 shown]
	s_movk_i32 s14, 0x2000
	global_load_dwordx2 v[118:119], v[78:79], off offset:1320
	global_load_dwordx2 v[120:121], v[78:79], off offset:1760
	;; [unrolled: 1-line block ×4, first 2 shown]
	v_add_co_u32_e32 v90, vcc, s14, v80
	v_addc_co_u32_e32 v91, vcc, 0, v94, vcc
	global_load_dwordx2 v[126:127], v[78:79], off offset:3080
	global_load_dwordx2 v[128:129], v[78:79], off offset:3520
	;; [unrolled: 1-line block ×6, first 2 shown]
	ds_read_b64 v[78:79], v87
	s_waitcnt vmcnt(12) lgkmcnt(0)
	v_mul_f32_e32 v80, v79, v93
	v_mul_f32_e32 v91, v78, v93
	v_fma_f32 v90, v78, v92, -v80
	v_fmac_f32_e32 v91, v79, v92
	ds_write_b64 v87, v[90:91]
	ds_read2_b64 v[90:93], v87 offset0:55 offset1:110
	ds_read2_b64 v[94:97], v87 offset0:165 offset1:220
	;; [unrolled: 1-line block ×6, first 2 shown]
	s_waitcnt vmcnt(11) lgkmcnt(5)
	v_mul_f32_e32 v78, v91, v115
	v_mul_f32_e32 v79, v90, v115
	s_waitcnt vmcnt(10)
	v_mul_f32_e32 v80, v93, v117
	v_mul_f32_e32 v115, v92, v117
	s_waitcnt vmcnt(9) lgkmcnt(4)
	v_mul_f32_e32 v138, v95, v119
	v_mul_f32_e32 v117, v94, v119
	s_waitcnt vmcnt(8)
	v_mul_f32_e32 v139, v97, v121
	v_mul_f32_e32 v119, v96, v121
	;; [unrolled: 6-line block ×4, first 2 shown]
	s_waitcnt vmcnt(1) lgkmcnt(1)
	v_mul_f32_e32 v144, v107, v135
	v_mul_f32_e32 v129, v106, v135
	;; [unrolled: 1-line block ×4, first 2 shown]
	v_fma_f32 v78, v90, v114, -v78
	v_fmac_f32_e32 v79, v91, v114
	v_fma_f32 v114, v92, v116, -v80
	v_fmac_f32_e32 v115, v93, v116
	s_waitcnt lgkmcnt(0)
	v_mul_f32_e32 v146, v111, v133
	v_mul_f32_e32 v131, v110, v133
	s_waitcnt vmcnt(0)
	v_mul_f32_e32 v133, v113, v137
	v_fma_f32 v116, v94, v118, -v138
	v_fmac_f32_e32 v117, v95, v118
	v_fma_f32 v118, v96, v120, -v139
	v_fmac_f32_e32 v119, v97, v120
	;; [unrolled: 2-line block ×8, first 2 shown]
	ds_write2_b64 v87, v[78:79], v[114:115] offset0:55 offset1:110
	ds_write2_b64 v87, v[116:117], v[118:119] offset0:165 offset1:220
	;; [unrolled: 1-line block ×5, first 2 shown]
	v_mul_f32_e32 v78, v112, v137
	v_fma_f32 v130, v110, v132, -v146
	v_fmac_f32_e32 v131, v111, v132
	v_fma_f32 v77, v112, v136, -v133
	v_fmac_f32_e32 v78, v113, v136
	ds_write2_b64 v73, v[130:131], v[77:78] offset0:93 offset1:148
.LBB0_13:
	s_or_b64 exec, exec, s[12:13]
	s_waitcnt lgkmcnt(0)
	s_barrier
	s_and_saveexec_b64 s[12:13], s[0:1]
	s_cbranch_execz .LBB0_15
; %bb.14:
	v_add_u32_e32 v48, 0x800, v87
	ds_read_b64 v[75:76], v87
	ds_read2_b64 v[52:55], v87 offset0:55 offset1:110
	ds_read2_b64 v[56:59], v87 offset0:165 offset1:220
	;; [unrolled: 1-line block ×4, first 2 shown]
	v_add_u32_e32 v48, 0xc00, v87
	ds_read2_b64 v[60:63], v48 offset0:111 offset1:166
	v_add_u32_e32 v48, 0x1000, v87
	ds_read2_b64 v[48:51], v48 offset0:93 offset1:148
.LBB0_15:
	s_or_b64 exec, exec, s[12:13]
	s_waitcnt lgkmcnt(0)
	v_sub_f32_e32 v116, v53, v51
	v_add_f32_e32 v90, v50, v52
	v_add_f32_e32 v122, v51, v53
	s_mov_b32 s14, 0x3f62ad3f
	v_mul_f32_e32 v100, 0xbeedf032, v116
	v_sub_f32_e32 v124, v55, v49
	v_mul_f32_e32 v102, 0x3f62ad3f, v122
	v_fma_f32 v72, v90, s14, -v100
	s_mov_b32 s15, 0x3f116cb1
	v_add_f32_e32 v92, v48, v54
	v_add_f32_e32 v130, v49, v55
	v_mul_f32_e32 v104, 0xbf52af12, v124
	v_sub_f32_e32 v91, v52, v50
	v_add_f32_e32 v72, v75, v72
	v_mov_b32_e32 v73, v102
	v_mul_f32_e32 v106, 0x3f116cb1, v130
	v_fma_f32 v94, v92, s15, -v104
	v_fmac_f32_e32 v73, 0xbeedf032, v91
	v_mul_f32_e32 v105, 0xbf52af12, v116
	v_sub_f32_e32 v93, v54, v48
	v_add_f32_e32 v72, v94, v72
	v_mov_b32_e32 v94, v106
	v_add_f32_e32 v73, v76, v73
	v_mul_f32_e32 v107, 0x3f116cb1, v122
	v_fma_f32 v77, v90, s15, -v105
	v_fmac_f32_e32 v94, 0xbf52af12, v93
	v_mul_f32_e32 v109, 0xbf6f5d39, v124
	v_add_f32_e32 v77, v75, v77
	v_mov_b32_e32 v78, v107
	v_add_f32_e32 v73, v94, v73
	v_mul_f32_e32 v112, 0xbeb58ec6, v130
	v_fma_f32 v94, v92, s17, -v109
	v_fmac_f32_e32 v78, 0xbf52af12, v91
	s_mov_b32 s16, 0x3df6dbef
	v_mul_f32_e32 v111, 0xbf7e222b, v116
	v_add_f32_e32 v77, v94, v77
	v_mov_b32_e32 v94, v112
	v_add_f32_e32 v78, v76, v78
	v_mul_f32_e32 v114, 0x3df6dbef, v122
	v_fma_f32 v79, v90, s16, -v111
	v_fmac_f32_e32 v94, 0xbf6f5d39, v93
	v_mul_f32_e32 v118, 0xbe750f2a, v124
	v_add_f32_e32 v79, v75, v79
	v_mov_b32_e32 v80, v114
	v_add_f32_e32 v78, v94, v78
	v_mul_f32_e32 v121, 0xbf788fa5, v130
	v_fma_f32 v94, v92, s18, -v118
	v_fmac_f32_e32 v80, 0xbf7e222b, v91
	v_add_f32_e32 v79, v94, v79
	v_mov_b32_e32 v94, v121
	v_add_f32_e32 v80, v76, v80
	v_fmac_f32_e32 v94, 0xbe750f2a, v93
	v_sub_f32_e32 v132, v57, v63
	v_add_f32_e32 v80, v94, v80
	v_add_f32_e32 v94, v62, v56
	v_add_f32_e32 v138, v63, v57
	v_mul_f32_e32 v108, 0xbf7e222b, v132
	v_mul_f32_e32 v110, 0x3df6dbef, v138
	v_fma_f32 v96, v94, s16, -v108
	v_sub_f32_e32 v95, v56, v62
	v_add_f32_e32 v72, v96, v72
	v_mov_b32_e32 v96, v110
	v_fmac_f32_e32 v96, 0xbf7e222b, v95
	v_mul_f32_e32 v115, 0xbe750f2a, v132
	v_add_f32_e32 v73, v96, v73
	v_mul_f32_e32 v119, 0xbf788fa5, v138
	v_fma_f32 v96, v94, s18, -v115
	v_add_f32_e32 v77, v96, v77
	v_mov_b32_e32 v96, v119
	v_fmac_f32_e32 v96, 0xbe750f2a, v95
	v_mul_f32_e32 v126, 0x3f6f5d39, v132
	v_add_f32_e32 v78, v96, v78
	v_mul_f32_e32 v129, 0xbeb58ec6, v138
	v_fma_f32 v96, v94, s17, -v126
	v_add_f32_e32 v79, v96, v79
	v_mov_b32_e32 v96, v129
	v_fmac_f32_e32 v96, 0x3f6f5d39, v95
	v_sub_f32_e32 v137, v59, v61
	v_add_f32_e32 v80, v96, v80
	v_add_f32_e32 v96, v60, v58
	v_add_f32_e32 v142, v61, v59
	v_mul_f32_e32 v113, 0xbf6f5d39, v137
	v_mul_f32_e32 v117, 0xbeb58ec6, v142
	v_fma_f32 v98, v96, s17, -v113
	v_sub_f32_e32 v97, v58, v60
	v_add_f32_e32 v72, v98, v72
	v_mov_b32_e32 v98, v117
	v_fmac_f32_e32 v98, 0xbf6f5d39, v97
	v_mul_f32_e32 v123, 0x3f29c268, v137
	v_add_f32_e32 v73, v98, v73
	v_mul_f32_e32 v127, 0xbf3f9e67, v142
	v_fma_f32 v98, v96, s19, -v123
	v_add_f32_e32 v77, v98, v77
	v_mov_b32_e32 v98, v127
	v_fmac_f32_e32 v98, 0x3f29c268, v97
	v_mul_f32_e32 v134, 0x3eedf032, v137
	v_add_f32_e32 v78, v98, v78
	v_mul_f32_e32 v136, 0x3f62ad3f, v142
	v_fma_f32 v98, v96, s14, -v134
	v_add_f32_e32 v79, v98, v79
	v_mov_b32_e32 v98, v136
	v_fmac_f32_e32 v98, 0x3eedf032, v97
	v_sub_f32_e32 v143, v69, v67
	v_add_f32_e32 v80, v98, v80
	v_add_f32_e32 v98, v66, v68
	v_add_f32_e32 v147, v67, v69
	v_mul_f32_e32 v120, 0xbf29c268, v143
	v_mul_f32_e32 v125, 0xbf3f9e67, v147
	v_fma_f32 v101, v98, s19, -v120
	v_sub_f32_e32 v99, v68, v66
	v_add_f32_e32 v72, v101, v72
	v_mov_b32_e32 v101, v125
	v_fmac_f32_e32 v101, 0xbf29c268, v99
	v_mul_f32_e32 v131, 0x3f7e222b, v143
	v_add_f32_e32 v73, v101, v73
	v_mul_f32_e32 v135, 0x3df6dbef, v147
	v_fma_f32 v101, v98, s16, -v131
	v_add_f32_e32 v77, v101, v77
	v_mov_b32_e32 v101, v135
	v_fmac_f32_e32 v101, 0x3f7e222b, v99
	v_mul_f32_e32 v140, 0xbf52af12, v143
	v_add_f32_e32 v78, v101, v78
	v_mul_f32_e32 v144, 0x3f116cb1, v147
	v_fma_f32 v101, v98, s15, -v140
	v_add_f32_e32 v150, v101, v79
	v_mov_b32_e32 v79, v144
	v_sub_f32_e32 v146, v71, v65
	v_fmac_f32_e32 v79, 0xbf52af12, v99
	v_add_f32_e32 v101, v64, v70
	v_add_f32_e32 v149, v65, v71
	v_mul_f32_e32 v128, 0xbe750f2a, v146
	v_add_f32_e32 v151, v79, v80
	v_mul_f32_e32 v133, 0xbf788fa5, v149
	v_fma_f32 v79, v101, s18, -v128
	v_sub_f32_e32 v103, v70, v64
	v_add_f32_e32 v72, v79, v72
	v_mov_b32_e32 v79, v133
	v_fmac_f32_e32 v79, 0xbe750f2a, v103
	v_mul_f32_e32 v139, 0x3eedf032, v146
	v_add_f32_e32 v73, v79, v73
	v_mul_f32_e32 v141, 0x3f62ad3f, v149
	v_fma_f32 v79, v101, s14, -v139
	v_add_f32_e32 v79, v79, v77
	v_mov_b32_e32 v77, v141
	v_fmac_f32_e32 v77, 0x3eedf032, v103
	v_mul_f32_e32 v148, 0xbf3f9e67, v149
	v_add_f32_e32 v80, v77, v78
	v_mul_f32_e32 v145, 0xbf29c268, v146
	v_mov_b32_e32 v78, v148
	v_fma_f32 v77, v101, s19, -v145
	v_fmac_f32_e32 v78, 0xbf29c268, v103
	v_add_f32_e32 v77, v77, v150
	v_add_f32_e32 v78, v78, v151
	s_barrier
	s_and_saveexec_b64 s[12:13], s[0:1]
	s_cbranch_execz .LBB0_17
; %bb.16:
	v_mul_f32_e32 v190, 0xbf788fa5, v122
	v_mov_b32_e32 v150, v190
	v_mul_f32_e32 v191, 0x3f62ad3f, v130
	v_fmac_f32_e32 v150, 0x3e750f2a, v91
	v_mov_b32_e32 v151, v191
	v_add_f32_e32 v150, v76, v150
	v_fmac_f32_e32 v151, 0xbeedf032, v93
	v_mul_f32_e32 v192, 0xbf3f9e67, v138
	v_add_f32_e32 v150, v151, v150
	v_mov_b32_e32 v151, v192
	v_fmac_f32_e32 v151, 0x3f29c268, v95
	v_mul_f32_e32 v193, 0x3f116cb1, v142
	v_add_f32_e32 v150, v151, v150
	v_mov_b32_e32 v151, v193
	v_fmac_f32_e32 v151, 0xbf52af12, v97
	v_mul_f32_e32 v194, 0xbeb58ec6, v147
	v_add_f32_e32 v150, v151, v150
	v_mov_b32_e32 v151, v194
	v_fmac_f32_e32 v151, 0x3f6f5d39, v99
	v_mul_f32_e32 v195, 0x3df6dbef, v149
	v_add_f32_e32 v150, v151, v150
	v_mov_b32_e32 v151, v195
	v_fmac_f32_e32 v151, 0xbf7e222b, v103
	v_mul_f32_e32 v196, 0xbe750f2a, v116
	v_add_f32_e32 v151, v151, v150
	v_mov_b32_e32 v150, v196
	v_mul_f32_e32 v197, 0x3eedf032, v124
	v_fmac_f32_e32 v150, 0xbf788fa5, v90
	v_mov_b32_e32 v152, v197
	v_add_f32_e32 v150, v75, v150
	v_fmac_f32_e32 v152, 0x3f62ad3f, v92
	v_mul_f32_e32 v198, 0xbf29c268, v132
	v_add_f32_e32 v150, v152, v150
	v_mov_b32_e32 v152, v198
	v_fmac_f32_e32 v152, 0xbf3f9e67, v94
	v_mul_f32_e32 v199, 0x3f52af12, v137
	v_add_f32_e32 v150, v152, v150
	v_mov_b32_e32 v152, v199
	v_fmac_f32_e32 v152, 0x3f116cb1, v96
	v_mul_f32_e32 v200, 0xbf6f5d39, v143
	v_add_f32_e32 v150, v152, v150
	v_mov_b32_e32 v152, v200
	v_fmac_f32_e32 v152, 0xbeb58ec6, v98
	v_mul_f32_e32 v201, 0x3f7e222b, v146
	v_add_f32_e32 v150, v152, v150
	v_mov_b32_e32 v152, v201
	v_fmac_f32_e32 v152, 0x3df6dbef, v101
	v_mul_f32_e32 v202, 0xbf3f9e67, v122
	v_add_f32_e32 v150, v152, v150
	;; [unrolled: 24-line block ×3, first 2 shown]
	v_mov_b32_e32 v152, v208
	v_mul_f32_e32 v209, 0x3f7e222b, v124
	v_fmac_f32_e32 v152, 0xbf3f9e67, v90
	v_mov_b32_e32 v210, v209
	v_add_f32_e32 v152, v75, v152
	v_fmac_f32_e32 v210, 0x3df6dbef, v92
	v_add_f32_e32 v152, v210, v152
	v_mul_f32_e32 v210, 0xbf52af12, v132
	v_mov_b32_e32 v211, v210
	v_fmac_f32_e32 v211, 0x3f116cb1, v94
	v_add_f32_e32 v152, v211, v152
	v_mul_f32_e32 v211, 0x3e750f2a, v137
	v_mov_b32_e32 v212, v211
	;; [unrolled: 4-line block ×3, first 2 shown]
	v_add_f32_e32 v53, v53, v76
	v_fmac_f32_e32 v213, 0x3f62ad3f, v98
	v_add_f32_e32 v53, v55, v53
	v_add_f32_e32 v152, v213, v152
	v_mul_f32_e32 v213, 0xbf6f5d39, v146
	v_add_f32_e32 v53, v57, v53
	v_mov_b32_e32 v214, v213
	v_add_f32_e32 v53, v59, v53
	v_fmac_f32_e32 v214, 0xbeb58ec6, v101
	v_add_f32_e32 v53, v69, v53
	v_add_f32_e32 v152, v214, v152
	v_mul_f32_e32 v214, 0xbeb58ec6, v122
	v_add_f32_e32 v53, v71, v53
	v_mov_b32_e32 v122, v214
	v_mul_f32_e32 v130, 0xbf3f9e67, v130
	v_add_f32_e32 v53, v65, v53
	v_fmac_f32_e32 v122, 0x3f6f5d39, v91
	v_mov_b32_e32 v215, v130
	v_add_f32_e32 v53, v67, v53
	v_add_f32_e32 v122, v76, v122
	v_fmac_f32_e32 v215, 0xbf29c268, v93
	v_add_f32_e32 v53, v61, v53
	v_add_f32_e32 v122, v215, v122
	v_mul_f32_e32 v215, 0x3f62ad3f, v138
	v_add_f32_e32 v53, v63, v53
	v_mov_b32_e32 v138, v215
	v_add_f32_e32 v49, v49, v53
	v_fmac_f32_e32 v138, 0xbeedf032, v95
	v_mul_f32_e32 v142, 0x3df6dbef, v142
	v_add_f32_e32 v49, v51, v49
	v_add_f32_e32 v51, v52, v75
	;; [unrolled: 1-line block ×3, first 2 shown]
	v_mov_b32_e32 v138, v142
	v_add_f32_e32 v51, v54, v51
	v_fmac_f32_e32 v138, 0x3f7e222b, v97
	v_mul_f32_e32 v147, 0xbf788fa5, v147
	v_add_f32_e32 v51, v56, v51
	v_add_f32_e32 v122, v138, v122
	v_mov_b32_e32 v138, v147
	v_add_f32_e32 v51, v58, v51
	v_fmac_f32_e32 v138, 0xbe750f2a, v99
	v_mul_f32_e32 v149, 0x3f116cb1, v149
	v_add_f32_e32 v51, v68, v51
	v_add_f32_e32 v122, v138, v122
	;; [unrolled: 6-line block ×3, first 2 shown]
	v_mov_b32_e32 v122, v116
	v_mul_f32_e32 v124, 0x3f29c268, v124
	v_add_f32_e32 v51, v66, v51
	v_fmac_f32_e32 v122, 0xbeb58ec6, v90
	v_mov_b32_e32 v216, v124
	v_add_f32_e32 v51, v60, v51
	v_add_f32_e32 v122, v75, v122
	v_fmac_f32_e32 v216, 0xbf3f9e67, v92
	v_mul_f32_e32 v132, 0x3eedf032, v132
	v_add_f32_e32 v51, v62, v51
	v_add_f32_e32 v122, v216, v122
	v_mov_b32_e32 v216, v132
	v_add_f32_e32 v48, v48, v51
	v_fmac_f32_e32 v190, 0xbe750f2a, v91
	v_fmac_f32_e32 v216, 0x3f62ad3f, v94
	v_add_f32_e32 v48, v50, v48
	v_add_f32_e32 v50, v76, v190
	v_fmac_f32_e32 v191, 0x3eedf032, v93
	v_mul_f32_e32 v159, 0xbf7e222b, v91
	v_add_f32_e32 v122, v216, v122
	v_mul_f32_e32 v216, 0xbf7e222b, v137
	v_add_f32_e32 v50, v191, v50
	v_fmac_f32_e32 v192, 0xbf29c268, v95
	v_mul_f32_e32 v165, 0xbe750f2a, v93
	v_mov_b32_e32 v137, v216
	v_sub_f32_e32 v114, v114, v159
	v_add_f32_e32 v50, v192, v50
	v_fmac_f32_e32 v193, 0x3f52af12, v97
	v_mul_f32_e32 v171, 0x3f6f5d39, v95
	v_fmac_f32_e32 v137, 0x3df6dbef, v96
	v_mul_f32_e32 v143, 0x3e750f2a, v143
	v_add_f32_e32 v114, v76, v114
	v_sub_f32_e32 v121, v121, v165
	v_add_f32_e32 v50, v193, v50
	v_fmac_f32_e32 v194, 0xbf6f5d39, v99
	v_mul_f32_e32 v177, 0x3eedf032, v97
	v_add_f32_e32 v122, v137, v122
	v_mov_b32_e32 v137, v143
	v_add_f32_e32 v114, v121, v114
	v_sub_f32_e32 v121, v129, v171
	v_add_f32_e32 v50, v194, v50
	v_fmac_f32_e32 v195, 0x3f7e222b, v103
	v_mul_f32_e32 v183, 0xbf52af12, v99
	v_fmac_f32_e32 v137, 0xbf788fa5, v98
	v_mul_f32_e32 v146, 0x3f52af12, v146
	v_add_f32_e32 v114, v121, v114
	v_sub_f32_e32 v121, v136, v177
	v_add_f32_e32 v51, v195, v50
	v_fma_f32 v50, v90, s18, -v196
	v_mul_f32_e32 v158, 0x3df6dbef, v90
	v_mul_f32_e32 v189, 0xbf29c268, v103
	v_add_f32_e32 v122, v137, v122
	v_mov_b32_e32 v137, v146
	v_add_f32_e32 v114, v121, v114
	v_sub_f32_e32 v121, v144, v183
	v_add_f32_e32 v50, v75, v50
	v_fma_f32 v52, v92, s14, -v197
	v_mul_f32_e32 v164, 0xbf788fa5, v92
	v_fmac_f32_e32 v137, 0x3f116cb1, v101
	v_add_f32_e32 v114, v121, v114
	v_sub_f32_e32 v121, v148, v189
	v_add_f32_e32 v111, v158, v111
	v_add_f32_e32 v50, v52, v50
	v_fma_f32 v52, v94, s19, -v198
	v_mul_f32_e32 v170, 0xbeb58ec6, v94
	v_add_f32_e32 v137, v137, v122
	v_add_f32_e32 v122, v121, v114
	;; [unrolled: 1-line block ×5, first 2 shown]
	v_fma_f32 v52, v96, s15, -v199
	v_mul_f32_e32 v176, 0x3f62ad3f, v96
	v_add_f32_e32 v111, v114, v111
	v_add_f32_e32 v114, v170, v126
	;; [unrolled: 1-line block ×3, first 2 shown]
	v_fma_f32 v52, v98, s17, -v200
	v_mul_f32_e32 v182, 0x3f116cb1, v98
	v_add_f32_e32 v111, v114, v111
	v_add_f32_e32 v114, v176, v134
	;; [unrolled: 1-line block ×3, first 2 shown]
	v_fma_f32 v52, v101, s16, -v201
	v_fmac_f32_e32 v202, 0xbf29c268, v91
	v_mul_f32_e32 v157, 0xbf52af12, v91
	v_mul_f32_e32 v188, 0xbf3f9e67, v101
	v_add_f32_e32 v111, v114, v111
	v_add_f32_e32 v114, v182, v140
	;; [unrolled: 1-line block ×4, first 2 shown]
	v_fmac_f32_e32 v203, 0x3f7e222b, v93
	v_mul_f32_e32 v163, 0xbf6f5d39, v93
	v_add_f32_e32 v111, v114, v111
	v_add_f32_e32 v114, v188, v145
	v_sub_f32_e32 v107, v107, v157
	v_add_f32_e32 v52, v203, v52
	v_fmac_f32_e32 v204, 0xbf52af12, v95
	v_mul_f32_e32 v169, 0xbe750f2a, v95
	v_add_f32_e32 v121, v114, v111
	v_add_f32_e32 v107, v76, v107
	v_sub_f32_e32 v111, v112, v163
	v_add_f32_e32 v52, v204, v52
	v_fmac_f32_e32 v205, 0x3e750f2a, v97
	v_mul_f32_e32 v175, 0x3f29c268, v97
	v_add_f32_e32 v107, v111, v107
	v_sub_f32_e32 v111, v119, v169
	v_add_f32_e32 v52, v205, v52
	v_fmac_f32_e32 v206, 0x3eedf032, v99
	v_mul_f32_e32 v181, 0x3f7e222b, v99
	;; [unrolled: 5-line block ×3, first 2 shown]
	v_mul_f32_e32 v187, 0x3eedf032, v103
	v_add_f32_e32 v107, v111, v107
	v_sub_f32_e32 v111, v135, v181
	v_add_f32_e32 v53, v207, v52
	v_fma_f32 v52, v90, s19, -v208
	v_mul_f32_e32 v162, 0xbeb58ec6, v92
	v_add_f32_e32 v107, v111, v107
	v_sub_f32_e32 v111, v141, v187
	v_add_f32_e32 v105, v156, v105
	v_add_f32_e32 v52, v75, v52
	v_fma_f32 v54, v92, s16, -v209
	v_mul_f32_e32 v168, 0xbf788fa5, v94
	v_add_f32_e32 v112, v111, v107
	v_add_f32_e32 v105, v75, v105
	;; [unrolled: 1-line block ×4, first 2 shown]
	v_fma_f32 v54, v94, s15, -v210
	v_mul_f32_e32 v174, 0xbf3f9e67, v96
	v_add_f32_e32 v105, v107, v105
	v_add_f32_e32 v107, v168, v115
	;; [unrolled: 1-line block ×3, first 2 shown]
	v_fma_f32 v54, v96, s18, -v211
	v_mul_f32_e32 v180, 0x3df6dbef, v98
	v_add_f32_e32 v105, v107, v105
	v_add_f32_e32 v107, v174, v123
	;; [unrolled: 1-line block ×3, first 2 shown]
	v_fma_f32 v54, v98, s14, -v212
	v_mul_f32_e32 v155, 0xbeedf032, v91
	v_mul_f32_e32 v186, 0x3f62ad3f, v101
	v_add_f32_e32 v105, v107, v105
	v_add_f32_e32 v107, v180, v131
	;; [unrolled: 1-line block ×3, first 2 shown]
	v_fma_f32 v54, v101, s17, -v213
	v_fmac_f32_e32 v214, 0xbf6f5d39, v91
	v_mul_f32_e32 v161, 0xbf52af12, v93
	v_add_f32_e32 v105, v107, v105
	v_add_f32_e32 v107, v186, v139
	v_sub_f32_e32 v102, v102, v155
	v_add_f32_e32 v52, v54, v52
	v_add_f32_e32 v54, v76, v214
	v_fmac_f32_e32 v130, 0x3f29c268, v93
	v_mul_f32_e32 v167, 0xbf7e222b, v95
	v_add_f32_e32 v111, v107, v105
	v_add_f32_e32 v102, v76, v102
	v_sub_f32_e32 v105, v106, v161
	v_add_f32_e32 v54, v130, v54
	v_fmac_f32_e32 v215, 0x3eedf032, v95
	v_mul_f32_e32 v173, 0xbf6f5d39, v97
	v_add_f32_e32 v102, v105, v102
	v_sub_f32_e32 v105, v110, v167
	v_add_f32_e32 v54, v215, v54
	v_fmac_f32_e32 v142, 0xbf7e222b, v97
	v_mul_f32_e32 v179, 0xbf29c268, v99
	;; [unrolled: 5-line block ×3, first 2 shown]
	v_mul_f32_e32 v185, 0xbe750f2a, v103
	v_add_f32_e32 v102, v105, v102
	v_sub_f32_e32 v105, v125, v179
	v_add_f32_e32 v54, v147, v54
	v_fmac_f32_e32 v149, 0x3f52af12, v103
	v_mul_f32_e32 v160, 0x3f116cb1, v92
	v_add_f32_e32 v102, v105, v102
	v_sub_f32_e32 v105, v133, v185
	v_add_f32_e32 v100, v154, v100
	v_add_f32_e32 v55, v149, v54
	v_fma_f32 v54, v90, s17, -v116
	v_mul_f32_e32 v166, 0x3df6dbef, v94
	v_add_f32_e32 v105, v105, v102
	v_add_f32_e32 v100, v75, v100
	;; [unrolled: 1-line block ×4, first 2 shown]
	v_fma_f32 v56, v92, s19, -v124
	v_mul_f32_e32 v172, 0xbeb58ec6, v96
	v_add_f32_e32 v100, v102, v100
	v_add_f32_e32 v102, v166, v108
	v_add_f32_e32 v54, v56, v54
	v_fma_f32 v56, v94, s14, -v132
	v_mul_f32_e32 v178, 0xbf3f9e67, v98
	v_add_f32_e32 v100, v102, v100
	v_add_f32_e32 v102, v172, v113
	v_add_f32_e32 v54, v56, v54
	;; [unrolled: 5-line block ×3, first 2 shown]
	v_fma_f32 v56, v98, s18, -v143
	v_add_f32_e32 v100, v102, v100
	v_add_f32_e32 v102, v184, v128
	;; [unrolled: 1-line block ×3, first 2 shown]
	v_fma_f32 v56, v101, s15, -v146
	v_add_f32_e32 v104, v102, v100
	v_add_f32_e32 v54, v56, v54
	v_lshl_add_u32 v56, v85, 3, v83
	ds_write2_b64 v56, v[48:49], v[104:105] offset1:1
	ds_write2_b64 v56, v[111:112], v[121:122] offset0:2 offset1:3
	ds_write2_b64 v56, v[137:138], v[152:153] offset0:4 offset1:5
	ds_write2_b64 v56, v[150:151], v[50:51] offset0:6 offset1:7
	ds_write2_b64 v56, v[52:53], v[54:55] offset0:8 offset1:9
	ds_write2_b64 v56, v[77:78], v[79:80] offset0:10 offset1:11
	ds_write_b64 v56, v[72:73] offset:96
.LBB0_17:
	s_or_b64 exec, exec, s[12:13]
	v_add_u32_e32 v69, 0x800, v84
	v_add_u32_e32 v68, 0x1000, v84
	s_waitcnt lgkmcnt(0)
	s_barrier
	ds_read2_b64 v[48:51], v84 offset1:65
	ds_read2_b64 v[64:67], v84 offset0:143 offset1:208
	ds_read2_b64 v[60:63], v69 offset0:30 offset1:95
	;; [unrolled: 1-line block ×4, first 2 shown]
	s_and_saveexec_b64 s[12:13], s[2:3]
	s_cbranch_execz .LBB0_19
; %bb.18:
	ds_read2_b64 v[70:73], v69 offset0:17 offset1:160
	ds_read_b64 v[77:78], v84 offset:1040
	ds_read2_b64 v[24:27], v68 offset0:47 offset1:190
	s_waitcnt lgkmcnt(2)
	v_mov_b32_e32 v79, v70
	v_mov_b32_e32 v80, v71
.LBB0_19:
	s_or_b64 exec, exec, s[12:13]
	s_waitcnt lgkmcnt(3)
	v_mul_f32_e32 v68, v13, v65
	v_mul_f32_e32 v13, v13, v64
	v_fmac_f32_e32 v68, v12, v64
	v_fma_f32 v64, v12, v65, -v13
	s_waitcnt lgkmcnt(2)
	v_mul_f32_e32 v65, v15, v61
	v_mul_f32_e32 v12, v15, v60
	s_waitcnt lgkmcnt(1)
	v_mul_f32_e32 v15, v9, v57
	v_mul_f32_e32 v9, v9, v56
	v_fmac_f32_e32 v65, v14, v60
	v_fmac_f32_e32 v15, v8, v56
	v_fma_f32 v56, v8, v57, -v9
	s_waitcnt lgkmcnt(0)
	v_mul_f32_e32 v13, v11, v53
	v_mul_f32_e32 v8, v11, v52
	v_fmac_f32_e32 v13, v10, v52
	v_fma_f32 v52, v10, v53, -v8
	v_mul_f32_e32 v8, v21, v66
	v_add_f32_e32 v9, v65, v15
	v_fma_f32 v60, v14, v61, -v12
	v_fma_f32 v57, v20, v67, -v8
	v_mul_f32_e32 v61, v23, v63
	v_mul_f32_e32 v8, v23, v62
	v_fma_f32 v10, -0.5, v9, v48
	v_fmac_f32_e32 v61, v22, v62
	v_fma_f32 v62, v22, v63, -v8
	v_mul_f32_e32 v63, v17, v59
	v_mul_f32_e32 v8, v17, v58
	v_sub_f32_e32 v9, v64, v52
	v_mov_b32_e32 v12, v10
	v_fmac_f32_e32 v63, v16, v58
	v_fma_f32 v58, v16, v59, -v8
	v_fmac_f32_e32 v12, 0xbf737871, v9
	v_sub_f32_e32 v11, v60, v56
	v_sub_f32_e32 v14, v68, v65
	;; [unrolled: 1-line block ×3, first 2 shown]
	v_fmac_f32_e32 v10, 0x3f737871, v9
	v_fmac_f32_e32 v12, 0xbf167918, v11
	v_add_f32_e32 v14, v14, v16
	v_fmac_f32_e32 v10, 0x3f167918, v11
	v_fmac_f32_e32 v12, 0x3e9e377a, v14
	v_fmac_f32_e32 v10, 0x3e9e377a, v14
	v_add_f32_e32 v14, v68, v13
	v_mul_f32_e32 v23, v19, v55
	v_mul_f32_e32 v8, v19, v54
	v_fma_f32 v14, -0.5, v14, v48
	v_fmac_f32_e32 v23, v18, v54
	v_fma_f32 v54, v18, v55, -v8
	v_add_f32_e32 v8, v48, v68
	v_mov_b32_e32 v16, v14
	v_add_f32_e32 v8, v8, v65
	v_fmac_f32_e32 v16, 0x3f737871, v11
	v_fmac_f32_e32 v14, 0xbf737871, v11
	v_add_f32_e32 v11, v60, v56
	v_add_f32_e32 v8, v8, v15
	v_sub_f32_e32 v17, v65, v68
	v_sub_f32_e32 v18, v15, v13
	v_fma_f32 v11, -0.5, v11, v49
	v_add_f32_e32 v8, v8, v13
	v_fmac_f32_e32 v16, 0xbf167918, v9
	v_add_f32_e32 v17, v17, v18
	v_fmac_f32_e32 v14, 0x3f167918, v9
	v_sub_f32_e32 v18, v68, v13
	v_mov_b32_e32 v13, v11
	v_fmac_f32_e32 v16, 0x3e9e377a, v17
	v_fmac_f32_e32 v14, 0x3e9e377a, v17
	;; [unrolled: 1-line block ×3, first 2 shown]
	v_sub_f32_e32 v19, v65, v15
	v_sub_f32_e32 v15, v64, v60
	;; [unrolled: 1-line block ×3, first 2 shown]
	v_fmac_f32_e32 v11, 0xbf737871, v18
	v_fmac_f32_e32 v13, 0x3f167918, v19
	v_add_f32_e32 v15, v15, v17
	v_fmac_f32_e32 v11, 0xbf167918, v19
	v_fmac_f32_e32 v13, 0x3e9e377a, v15
	;; [unrolled: 1-line block ×3, first 2 shown]
	v_add_f32_e32 v15, v64, v52
	v_fma_f32 v15, -0.5, v15, v49
	v_mul_f32_e32 v53, v21, v67
	v_mov_b32_e32 v17, v15
	v_fmac_f32_e32 v53, v20, v66
	v_fmac_f32_e32 v17, 0xbf737871, v19
	v_sub_f32_e32 v20, v60, v64
	v_sub_f32_e32 v21, v56, v52
	v_fmac_f32_e32 v15, 0x3f737871, v19
	v_fmac_f32_e32 v17, 0x3f167918, v18
	v_add_f32_e32 v20, v20, v21
	v_fmac_f32_e32 v15, 0xbf167918, v18
	v_add_f32_e32 v19, v61, v63
	v_fmac_f32_e32 v17, 0x3e9e377a, v20
	v_fmac_f32_e32 v15, 0x3e9e377a, v20
	v_fma_f32 v20, -0.5, v19, v50
	v_sub_f32_e32 v19, v57, v54
	v_mov_b32_e32 v22, v20
	v_add_f32_e32 v9, v49, v64
	v_fmac_f32_e32 v22, 0xbf737871, v19
	v_sub_f32_e32 v21, v62, v58
	v_sub_f32_e32 v48, v53, v61
	;; [unrolled: 1-line block ×3, first 2 shown]
	v_fmac_f32_e32 v20, 0x3f737871, v19
	v_fmac_f32_e32 v22, 0xbf167918, v21
	v_add_f32_e32 v48, v48, v49
	v_fmac_f32_e32 v20, 0x3f167918, v21
	v_fmac_f32_e32 v22, 0x3e9e377a, v48
	;; [unrolled: 1-line block ×3, first 2 shown]
	v_add_f32_e32 v48, v53, v23
	v_add_f32_e32 v18, v50, v53
	v_fma_f32 v50, -0.5, v48, v50
	v_add_f32_e32 v9, v9, v60
	v_mov_b32_e32 v48, v50
	v_add_f32_e32 v9, v9, v56
	v_add_f32_e32 v18, v18, v61
	v_fmac_f32_e32 v48, 0x3f737871, v21
	v_fmac_f32_e32 v50, 0xbf737871, v21
	v_add_f32_e32 v21, v62, v58
	v_add_f32_e32 v9, v9, v52
	;; [unrolled: 1-line block ×3, first 2 shown]
	v_sub_f32_e32 v49, v61, v53
	v_sub_f32_e32 v52, v63, v23
	v_fma_f32 v21, -0.5, v21, v51
	v_add_f32_e32 v18, v18, v23
	v_fmac_f32_e32 v48, 0xbf167918, v19
	v_add_f32_e32 v49, v49, v52
	v_fmac_f32_e32 v50, 0x3f167918, v19
	v_sub_f32_e32 v52, v53, v23
	v_mov_b32_e32 v23, v21
	v_fmac_f32_e32 v48, 0x3e9e377a, v49
	v_fmac_f32_e32 v50, 0x3e9e377a, v49
	;; [unrolled: 1-line block ×3, first 2 shown]
	v_sub_f32_e32 v53, v61, v63
	v_sub_f32_e32 v49, v57, v62
	;; [unrolled: 1-line block ×3, first 2 shown]
	v_fmac_f32_e32 v21, 0xbf737871, v52
	v_fmac_f32_e32 v23, 0x3f167918, v53
	v_add_f32_e32 v49, v49, v55
	v_fmac_f32_e32 v21, 0xbf167918, v53
	v_add_f32_e32 v19, v51, v57
	v_fmac_f32_e32 v23, 0x3e9e377a, v49
	v_fmac_f32_e32 v21, 0x3e9e377a, v49
	v_add_f32_e32 v49, v57, v54
	v_add_f32_e32 v19, v19, v62
	v_fmac_f32_e32 v51, -0.5, v49
	v_add_f32_e32 v19, v19, v58
	v_mov_b32_e32 v49, v51
	v_add_f32_e32 v19, v19, v54
	v_fmac_f32_e32 v49, 0xbf737871, v53
	v_sub_f32_e32 v55, v62, v57
	v_sub_f32_e32 v54, v58, v54
	v_fmac_f32_e32 v51, 0x3f737871, v53
	v_fmac_f32_e32 v49, 0x3f167918, v52
	v_add_f32_e32 v54, v55, v54
	v_fmac_f32_e32 v51, 0xbf167918, v52
	v_fmac_f32_e32 v49, 0x3e9e377a, v54
	v_fmac_f32_e32 v51, 0x3e9e377a, v54
	s_barrier
	ds_write2_b64 v88, v[8:9], v[12:13] offset1:13
	ds_write2_b64 v88, v[16:17], v[14:15] offset0:26 offset1:39
	ds_write_b64 v88, v[10:11] offset:416
	ds_write2_b64 v89, v[18:19], v[22:23] offset1:13
	ds_write2_b64 v89, v[48:49], v[50:51] offset0:26 offset1:39
	ds_write_b64 v89, v[20:21] offset:416
	s_and_saveexec_b64 s[12:13], s[2:3]
	s_cbranch_execz .LBB0_21
; %bb.20:
	v_mul_f32_e32 v8, v7, v72
	v_mul_f32_e32 v10, v1, v24
	v_fma_f32 v9, v6, v73, -v8
	v_mul_f32_e32 v8, v5, v79
	v_fma_f32 v12, v0, v25, -v10
	;; [unrolled: 2-line block ×3, first 2 shown]
	v_fma_f32 v13, v2, v27, -v10
	v_mul_f32_e32 v14, v7, v73
	v_mul_f32_e32 v15, v1, v25
	v_add_f32_e32 v1, v11, v13
	v_mul_f32_e32 v16, v5, v80
	v_fmac_f32_e32 v14, v6, v72
	v_fmac_f32_e32 v15, v0, v24
	v_fma_f32 v1, -0.5, v1, v78
	v_fmac_f32_e32 v16, v4, v79
	v_mul_f32_e32 v4, v3, v27
	v_sub_f32_e32 v0, v14, v15
	v_mov_b32_e32 v6, v1
	v_fmac_f32_e32 v4, v2, v26
	v_sub_f32_e32 v3, v11, v9
	v_sub_f32_e32 v5, v13, v12
	;; [unrolled: 1-line block ×4, first 2 shown]
	v_fmac_f32_e32 v6, 0x3f737871, v0
	v_sub_f32_e32 v2, v16, v4
	v_fmac_f32_e32 v1, 0xbf737871, v0
	v_add_f32_e32 v5, v3, v5
	v_add_f32_e32 v3, v9, v12
	;; [unrolled: 1-line block ×3, first 2 shown]
	v_fmac_f32_e32 v6, 0xbf167918, v2
	v_fmac_f32_e32 v1, 0x3f167918, v2
	v_fma_f32 v3, -0.5, v3, v78
	v_fmac_f32_e32 v6, 0x3e9e377a, v8
	v_fmac_f32_e32 v1, 0x3e9e377a, v8
	v_mov_b32_e32 v8, v3
	v_fmac_f32_e32 v8, 0xbf737871, v2
	v_fmac_f32_e32 v3, 0x3f737871, v2
	;; [unrolled: 1-line block ×4, first 2 shown]
	v_add_f32_e32 v0, v78, v11
	v_add_f32_e32 v0, v0, v9
	v_add_f32_e32 v0, v0, v12
	v_add_f32_e32 v10, v0, v13
	v_sub_f32_e32 v0, v14, v16
	v_sub_f32_e32 v2, v15, v4
	v_add_f32_e32 v2, v0, v2
	v_add_f32_e32 v0, v16, v4
	v_fma_f32 v0, -0.5, v0, v77
	v_fmac_f32_e32 v8, 0x3e9e377a, v5
	v_fmac_f32_e32 v3, 0x3e9e377a, v5
	v_sub_f32_e32 v9, v9, v12
	v_mov_b32_e32 v5, v0
	v_sub_f32_e32 v11, v11, v13
	v_fmac_f32_e32 v5, 0xbf737871, v9
	v_fmac_f32_e32 v0, 0x3f737871, v9
	;; [unrolled: 1-line block ×6, first 2 shown]
	v_sub_f32_e32 v2, v16, v14
	v_sub_f32_e32 v7, v4, v15
	v_add_f32_e32 v12, v2, v7
	v_add_f32_e32 v2, v14, v15
	v_fma_f32 v2, -0.5, v2, v77
	v_mov_b32_e32 v7, v2
	v_fmac_f32_e32 v7, 0x3f737871, v11
	v_fmac_f32_e32 v2, 0xbf737871, v11
	;; [unrolled: 1-line block ×4, first 2 shown]
	v_add_f32_e32 v9, v77, v16
	v_add_f32_e32 v9, v9, v14
	;; [unrolled: 1-line block ×4, first 2 shown]
	v_and_b32_e32 v4, 0xff, v86
	v_lshl_add_u32 v4, v4, 3, v83
	v_fmac_f32_e32 v2, 0x3e9e377a, v12
	v_add_u32_e32 v11, 0x1000, v4
	v_fmac_f32_e32 v7, 0x3e9e377a, v12
	ds_write2_b64 v11, v[9:10], v[2:3] offset0:138 offset1:151
	ds_write2_b64 v11, v[0:1], v[5:6] offset0:164 offset1:177
	ds_write_b64 v4, v[7:8] offset:5616
.LBB0_21:
	s_or_b64 exec, exec, s[12:13]
	s_waitcnt lgkmcnt(0)
	s_barrier
	ds_read2_b64 v[0:3], v84 offset1:65
	ds_read2_b64 v[4:7], v84 offset0:130 offset1:195
	v_add_u32_e32 v12, 0x800, v84
	ds_read2_b64 v[8:11], v12 offset0:4 offset1:69
	ds_read2_b64 v[12:15], v12 offset0:134 offset1:199
	v_add_u32_e32 v16, 0x1000, v84
	s_waitcnt lgkmcnt(3)
	v_mul_f32_e32 v22, v41, v3
	v_fmac_f32_e32 v22, v40, v2
	v_mul_f32_e32 v2, v41, v2
	v_fma_f32 v23, v40, v3, -v2
	s_waitcnt lgkmcnt(2)
	v_mul_f32_e32 v24, v43, v5
	v_mul_f32_e32 v2, v43, v4
	v_fmac_f32_e32 v24, v42, v4
	v_fma_f32 v4, v42, v5, -v2
	v_mul_f32_e32 v5, v37, v7
	v_mul_f32_e32 v2, v37, v6
	ds_read2_b64 v[16:19], v16 offset0:8 offset1:73
	ds_read_b64 v[20:21], v84 offset:5200
	v_fmac_f32_e32 v5, v36, v6
	v_fma_f32 v6, v36, v7, -v2
	s_waitcnt lgkmcnt(3)
	v_mul_f32_e32 v7, v39, v9
	v_mul_f32_e32 v2, v39, v8
	v_fmac_f32_e32 v7, v38, v8
	v_fma_f32 v8, v38, v9, -v2
	v_mul_f32_e32 v9, v33, v11
	v_mul_f32_e32 v2, v33, v10
	v_fmac_f32_e32 v9, v32, v10
	v_fma_f32 v10, v32, v11, -v2
	s_waitcnt lgkmcnt(2)
	v_mul_f32_e32 v11, v35, v13
	v_mul_f32_e32 v2, v35, v12
	v_fmac_f32_e32 v11, v34, v12
	v_fma_f32 v12, v34, v13, -v2
	v_mul_f32_e32 v13, v29, v15
	v_mul_f32_e32 v2, v29, v14
	v_fmac_f32_e32 v13, v28, v14
	v_fma_f32 v14, v28, v15, -v2
	s_waitcnt lgkmcnt(1)
	v_mul_f32_e32 v15, v31, v17
	v_mul_f32_e32 v2, v31, v16
	v_fmac_f32_e32 v15, v30, v16
	v_fma_f32 v16, v30, v17, -v2
	v_mul_f32_e32 v17, v45, v19
	v_mul_f32_e32 v2, v45, v18
	v_fmac_f32_e32 v17, v44, v18
	v_fma_f32 v18, v44, v19, -v2
	s_waitcnt lgkmcnt(0)
	v_mul_f32_e32 v19, v47, v21
	v_mul_f32_e32 v2, v47, v20
	v_add_f32_e32 v3, v1, v23
	v_fmac_f32_e32 v19, v46, v20
	v_fma_f32 v20, v46, v21, -v2
	v_add_f32_e32 v2, v0, v22
	v_add_f32_e32 v3, v3, v4
	;; [unrolled: 1-line block ×19, first 2 shown]
	v_sub_f32_e32 v20, v23, v20
	v_add_f32_e32 v2, v2, v19
	v_add_f32_e32 v21, v22, v19
	v_sub_f32_e32 v19, v22, v19
	v_mul_f32_e32 v22, 0xbf0a6770, v20
	v_mul_f32_e32 v28, 0xbf68dda4, v20
	;; [unrolled: 1-line block ×5, first 2 shown]
	s_mov_b32 s13, 0x3f575c64
	v_mov_b32_e32 v23, v22
	s_mov_b32 s3, 0x3ed4b147
	v_mov_b32_e32 v29, v28
	;; [unrolled: 2-line block ×5, first 2 shown]
	v_fmac_f32_e32 v23, 0x3f575c64, v21
	v_fma_f32 v22, v21, s13, -v22
	v_fmac_f32_e32 v29, 0x3ed4b147, v21
	v_fma_f32 v28, v21, s3, -v28
	;; [unrolled: 2-line block ×5, first 2 shown]
	v_add_f32_e32 v23, v0, v23
	v_mul_f32_e32 v26, 0x3f575c64, v25
	v_add_f32_e32 v22, v0, v22
	v_add_f32_e32 v29, v0, v29
	v_mul_f32_e32 v30, 0x3ed4b147, v25
	v_add_f32_e32 v28, v0, v28
	v_add_f32_e32 v33, v0, v33
	v_mul_f32_e32 v34, 0xbe11bafb, v25
	v_add_f32_e32 v32, v0, v32
	v_add_f32_e32 v37, v0, v37
	v_mul_f32_e32 v38, 0xbf27a4f4, v25
	v_add_f32_e32 v36, v0, v36
	v_add_f32_e32 v40, v0, v40
	v_mul_f32_e32 v25, 0xbf75a155, v25
	v_add_f32_e32 v0, v0, v20
	v_add_f32_e32 v20, v4, v18
	v_sub_f32_e32 v4, v4, v18
	v_mov_b32_e32 v27, v26
	v_mov_b32_e32 v31, v30
	;; [unrolled: 1-line block ×5, first 2 shown]
	v_mul_f32_e32 v18, 0xbf68dda4, v4
	v_fmac_f32_e32 v27, 0x3f0a6770, v19
	v_fmac_f32_e32 v26, 0xbf0a6770, v19
	;; [unrolled: 1-line block ×10, first 2 shown]
	v_add_f32_e32 v19, v24, v17
	v_mov_b32_e32 v21, v18
	v_fmac_f32_e32 v21, 0x3ed4b147, v19
	v_sub_f32_e32 v17, v24, v17
	v_add_f32_e32 v21, v21, v23
	v_mul_f32_e32 v23, 0x3ed4b147, v20
	v_add_f32_e32 v26, v1, v26
	v_mov_b32_e32 v24, v23
	v_fma_f32 v18, v19, s3, -v18
	v_fmac_f32_e32 v23, 0xbf68dda4, v17
	v_add_f32_e32 v18, v18, v22
	v_add_f32_e32 v22, v23, v26
	v_mul_f32_e32 v23, 0xbf4178ce, v4
	v_add_f32_e32 v27, v1, v27
	v_add_f32_e32 v31, v1, v31
	;; [unrolled: 1-line block ×9, first 2 shown]
	v_mov_b32_e32 v25, v23
	v_fma_f32 v23, v19, s14, -v23
	v_fmac_f32_e32 v24, 0x3f68dda4, v17
	v_fmac_f32_e32 v25, 0xbf27a4f4, v19
	v_mul_f32_e32 v26, 0xbf27a4f4, v20
	v_add_f32_e32 v23, v23, v28
	v_mul_f32_e32 v28, 0x3e903f40, v4
	v_add_f32_e32 v24, v24, v27
	v_add_f32_e32 v25, v25, v29
	v_mov_b32_e32 v27, v26
	v_fmac_f32_e32 v26, 0xbf4178ce, v17
	v_mov_b32_e32 v29, v28
	v_fma_f32 v28, v19, s15, -v28
	v_fmac_f32_e32 v27, 0x3f4178ce, v17
	v_add_f32_e32 v26, v26, v30
	v_fmac_f32_e32 v29, 0xbf75a155, v19
	v_mul_f32_e32 v30, 0xbf75a155, v20
	v_add_f32_e32 v28, v28, v32
	v_mul_f32_e32 v32, 0x3f7d64f0, v4
	v_add_f32_e32 v27, v27, v31
	v_add_f32_e32 v29, v29, v33
	v_mov_b32_e32 v31, v30
	v_fmac_f32_e32 v30, 0x3e903f40, v17
	v_mov_b32_e32 v33, v32
	v_fmac_f32_e32 v31, 0xbe903f40, v17
	v_add_f32_e32 v30, v30, v34
	v_fmac_f32_e32 v33, 0xbe11bafb, v19
	v_mul_f32_e32 v34, 0xbe11bafb, v20
	v_mul_f32_e32 v20, 0x3f575c64, v20
	v_add_f32_e32 v31, v31, v35
	v_add_f32_e32 v33, v33, v37
	v_mov_b32_e32 v35, v34
	v_fma_f32 v32, v19, s12, -v32
	v_mul_f32_e32 v4, 0x3f0a6770, v4
	v_mov_b32_e32 v37, v20
	v_fmac_f32_e32 v35, 0xbf7d64f0, v17
	v_add_f32_e32 v32, v32, v36
	v_fmac_f32_e32 v34, 0x3f7d64f0, v17
	v_mov_b32_e32 v36, v4
	v_fmac_f32_e32 v37, 0xbf0a6770, v17
	v_fma_f32 v4, v19, s13, -v4
	v_fmac_f32_e32 v20, 0x3f0a6770, v17
	v_add_f32_e32 v17, v6, v16
	v_sub_f32_e32 v6, v6, v16
	v_fmac_f32_e32 v36, 0x3f575c64, v19
	v_add_f32_e32 v0, v4, v0
	v_add_f32_e32 v4, v5, v15
	v_sub_f32_e32 v5, v5, v15
	v_mul_f32_e32 v15, 0xbf7d64f0, v6
	v_mul_f32_e32 v19, 0xbe11bafb, v17
	v_add_f32_e32 v1, v20, v1
	v_mov_b32_e32 v16, v15
	v_mov_b32_e32 v20, v19
	v_fma_f32 v15, v4, s12, -v15
	v_fmac_f32_e32 v19, 0xbf7d64f0, v5
	v_fmac_f32_e32 v16, 0xbe11bafb, v4
	v_add_f32_e32 v15, v15, v18
	v_add_f32_e32 v18, v19, v22
	v_mul_f32_e32 v19, 0x3e903f40, v6
	v_add_f32_e32 v16, v16, v21
	v_mov_b32_e32 v21, v19
	v_fma_f32 v19, v4, s15, -v19
	v_fmac_f32_e32 v21, 0xbf75a155, v4
	v_add_f32_e32 v19, v19, v23
	v_mul_f32_e32 v23, 0x3f68dda4, v6
	v_fmac_f32_e32 v20, 0x3f7d64f0, v5
	v_add_f32_e32 v21, v21, v25
	v_mul_f32_e32 v22, 0xbf75a155, v17
	v_mov_b32_e32 v25, v23
	v_fma_f32 v23, v4, s3, -v23
	v_add_f32_e32 v20, v20, v24
	v_mov_b32_e32 v24, v22
	v_fmac_f32_e32 v22, 0x3e903f40, v5
	v_fmac_f32_e32 v25, 0x3ed4b147, v4
	v_add_f32_e32 v23, v23, v28
	v_mul_f32_e32 v28, 0xbf0a6770, v6
	v_fmac_f32_e32 v24, 0xbe903f40, v5
	v_add_f32_e32 v22, v22, v26
	v_add_f32_e32 v25, v25, v29
	v_mul_f32_e32 v26, 0x3ed4b147, v17
	v_mov_b32_e32 v29, v28
	v_fma_f32 v28, v4, s13, -v28
	v_mul_f32_e32 v6, 0xbf4178ce, v6
	v_add_f32_e32 v24, v24, v27
	v_mov_b32_e32 v27, v26
	v_fmac_f32_e32 v26, 0x3f68dda4, v5
	v_add_f32_e32 v28, v28, v32
	v_mov_b32_e32 v32, v6
	v_fmac_f32_e32 v27, 0xbf68dda4, v5
	v_add_f32_e32 v26, v26, v30
	v_fmac_f32_e32 v29, 0x3f575c64, v4
	v_mul_f32_e32 v30, 0x3f575c64, v17
	v_fmac_f32_e32 v32, 0xbf27a4f4, v4
	v_mul_f32_e32 v17, 0xbf27a4f4, v17
	v_fma_f32 v4, v4, s14, -v6
	v_add_f32_e32 v27, v27, v31
	v_add_f32_e32 v29, v29, v33
	v_mov_b32_e32 v31, v30
	v_mov_b32_e32 v33, v17
	v_add_f32_e32 v0, v4, v0
	v_add_f32_e32 v4, v7, v13
	v_sub_f32_e32 v6, v7, v13
	v_sub_f32_e32 v7, v8, v14
	v_fmac_f32_e32 v31, 0x3f0a6770, v5
	v_fmac_f32_e32 v30, 0xbf0a6770, v5
	;; [unrolled: 1-line block ×4, first 2 shown]
	v_add_f32_e32 v5, v8, v14
	v_mul_f32_e32 v8, 0xbf4178ce, v7
	v_mov_b32_e32 v13, v8
	v_fma_f32 v8, v4, s14, -v8
	v_fmac_f32_e32 v13, 0xbf27a4f4, v4
	v_mul_f32_e32 v14, 0xbf27a4f4, v5
	v_add_f32_e32 v8, v8, v15
	v_mul_f32_e32 v15, 0x3f7d64f0, v7
	v_add_f32_e32 v1, v17, v1
	v_add_f32_e32 v13, v13, v16
	v_mov_b32_e32 v16, v14
	v_fmac_f32_e32 v14, 0xbf4178ce, v6
	v_mov_b32_e32 v17, v15
	v_fma_f32 v15, v4, s12, -v15
	v_fmac_f32_e32 v16, 0x3f4178ce, v6
	v_add_f32_e32 v14, v14, v18
	v_fmac_f32_e32 v17, 0xbe11bafb, v4
	v_mul_f32_e32 v18, 0xbe11bafb, v5
	v_add_f32_e32 v15, v15, v19
	v_mul_f32_e32 v19, 0xbf0a6770, v7
	v_add_f32_e32 v16, v16, v20
	v_add_f32_e32 v17, v17, v21
	v_mov_b32_e32 v20, v18
	v_fmac_f32_e32 v18, 0x3f7d64f0, v6
	v_mov_b32_e32 v21, v19
	v_fma_f32 v19, v4, s13, -v19
	v_fmac_f32_e32 v20, 0xbf7d64f0, v6
	v_add_f32_e32 v18, v18, v22
	v_fmac_f32_e32 v21, 0x3f575c64, v4
	v_mul_f32_e32 v22, 0x3f575c64, v5
	v_add_f32_e32 v19, v19, v23
	v_mul_f32_e32 v23, 0xbe903f40, v7
	v_add_f32_e32 v20, v20, v24
	v_add_f32_e32 v21, v21, v25
	v_mov_b32_e32 v24, v22
	v_fmac_f32_e32 v22, 0xbf0a6770, v6
	v_mov_b32_e32 v25, v23
	v_fma_f32 v23, v4, s15, -v23
	v_mul_f32_e32 v7, 0x3f68dda4, v7
	v_add_f32_e32 v35, v35, v39
	v_add_f32_e32 v34, v34, v38
	;; [unrolled: 1-line block ×3, first 2 shown]
	v_fmac_f32_e32 v24, 0x3f0a6770, v6
	v_add_f32_e32 v22, v22, v26
	v_fmac_f32_e32 v25, 0xbf75a155, v4
	v_mul_f32_e32 v26, 0xbf75a155, v5
	v_add_f32_e32 v23, v23, v28
	v_mov_b32_e32 v28, v7
	v_mul_f32_e32 v5, 0x3ed4b147, v5
	v_add_f32_e32 v37, v37, v41
	v_add_f32_e32 v31, v31, v35
	;; [unrolled: 1-line block ×6, first 2 shown]
	v_mov_b32_e32 v27, v26
	v_fmac_f32_e32 v26, 0xbe903f40, v6
	v_fmac_f32_e32 v28, 0x3ed4b147, v4
	v_mov_b32_e32 v29, v5
	v_fma_f32 v4, v4, s3, -v7
	v_sub_f32_e32 v35, v10, v12
	v_add_f32_e32 v33, v33, v37
	v_add_f32_e32 v26, v26, v30
	;; [unrolled: 1-line block ×3, first 2 shown]
	v_fmac_f32_e32 v29, 0xbf68dda4, v6
	v_add_f32_e32 v30, v4, v0
	v_add_f32_e32 v32, v9, v11
	v_mul_f32_e32 v4, 0xbe903f40, v35
	v_fmac_f32_e32 v27, 0x3e903f40, v6
	v_add_f32_e32 v29, v29, v33
	v_fmac_f32_e32 v5, 0x3f68dda4, v6
	v_add_f32_e32 v33, v10, v12
	v_mov_b32_e32 v0, v4
	v_fma_f32 v4, v32, s15, -v4
	v_add_f32_e32 v27, v27, v31
	v_add_f32_e32 v31, v5, v1
	v_mul_f32_e32 v5, 0xbf75a155, v33
	v_add_f32_e32 v4, v4, v8
	v_mul_f32_e32 v8, 0x3f0a6770, v35
	v_sub_f32_e32 v34, v9, v11
	v_mov_b32_e32 v1, v5
	v_mov_b32_e32 v6, v8
	v_mul_f32_e32 v9, 0x3f575c64, v33
	v_mul_f32_e32 v12, 0xbf4178ce, v35
	v_fmac_f32_e32 v0, 0xbf75a155, v32
	v_fmac_f32_e32 v1, 0x3e903f40, v34
	;; [unrolled: 1-line block ×3, first 2 shown]
	v_mov_b32_e32 v7, v9
	v_mov_b32_e32 v10, v12
	v_add_f32_e32 v0, v0, v13
	v_add_f32_e32 v1, v1, v16
	v_fmac_f32_e32 v5, 0xbe903f40, v34
	v_add_f32_e32 v6, v6, v17
	v_fmac_f32_e32 v7, 0xbf0a6770, v34
	v_fma_f32 v8, v32, s13, -v8
	v_fmac_f32_e32 v10, 0xbf27a4f4, v32
	v_mul_f32_e32 v13, 0xbf27a4f4, v33
	v_mul_f32_e32 v16, 0x3f68dda4, v35
	;; [unrolled: 1-line block ×3, first 2 shown]
	v_add_f32_e32 v5, v5, v14
	v_add_f32_e32 v7, v7, v20
	;; [unrolled: 1-line block ×3, first 2 shown]
	v_fmac_f32_e32 v9, 0x3f0a6770, v34
	v_add_f32_e32 v10, v10, v21
	v_mov_b32_e32 v11, v13
	v_fma_f32 v12, v32, s14, -v12
	v_mov_b32_e32 v14, v16
	v_mov_b32_e32 v15, v17
	v_mul_f32_e32 v20, 0xbf7d64f0, v35
	v_mul_f32_e32 v21, 0xbe11bafb, v33
	v_add_f32_e32 v9, v9, v18
	v_fmac_f32_e32 v11, 0x3f4178ce, v34
	v_add_f32_e32 v12, v12, v19
	v_fmac_f32_e32 v14, 0x3ed4b147, v32
	v_fmac_f32_e32 v15, 0xbf68dda4, v34
	v_mov_b32_e32 v18, v20
	v_mov_b32_e32 v19, v21
	v_add_f32_e32 v11, v11, v24
	v_fmac_f32_e32 v13, 0xbf4178ce, v34
	v_add_f32_e32 v14, v14, v25
	v_add_f32_e32 v15, v15, v27
	v_fma_f32 v16, v32, s3, -v16
	v_fmac_f32_e32 v17, 0x3f68dda4, v34
	v_fmac_f32_e32 v18, 0xbe11bafb, v32
	;; [unrolled: 1-line block ×3, first 2 shown]
	v_fma_f32 v20, v32, s12, -v20
	v_fmac_f32_e32 v21, 0xbf7d64f0, v34
	ds_write_b64 v87, v[2:3]
	ds_write2_b64 v87, v[0:1], v[6:7] offset0:65 offset1:130
	v_add_u32_e32 v0, 0x400, v87
	s_movk_i32 s2, 0x1000
	v_add_f32_e32 v13, v13, v22
	v_add_f32_e32 v16, v16, v23
	;; [unrolled: 1-line block ×7, first 2 shown]
	ds_write2_b64 v0, v[10:11], v[14:15] offset0:67 offset1:132
	v_add_u32_e32 v2, 0x800, v87
	v_add_u32_e32 v1, 0xc00, v87
	;; [unrolled: 1-line block ×3, first 2 shown]
	ds_write2_b64 v2, v[18:19], v[20:21] offset0:69 offset1:134
	ds_write2_b64 v1, v[16:17], v[12:13] offset0:71 offset1:136
	;; [unrolled: 1-line block ×3, first 2 shown]
	s_waitcnt lgkmcnt(0)
	s_barrier
	s_and_b64 exec, exec, s[0:1]
	s_cbranch_execz .LBB0_23
; %bb.22:
	global_load_dwordx2 v[11:12], v81, s[8:9]
	global_load_dwordx2 v[13:14], v81, s[8:9] offset:440
	global_load_dwordx2 v[15:16], v81, s[8:9] offset:880
	global_load_dwordx2 v[17:18], v81, s[8:9] offset:1320
	ds_read_b64 v[21:22], v87
	ds_read2_b64 v[3:6], v87 offset0:55 offset1:110
	ds_read2_b64 v[7:10], v87 offset0:165 offset1:220
	global_load_dwordx2 v[25:26], v81, s[8:9] offset:1760
	global_load_dwordx2 v[27:28], v81, s[8:9] offset:2200
	;; [unrolled: 1-line block ×5, first 2 shown]
	v_mad_u64_u32 v[19:20], s[0:1], s6, v74, 0
	v_mov_b32_e32 v35, s9
	v_add_co_u32_e32 v36, vcc, s8, v81
	v_mad_u64_u32 v[23:24], s[12:13], s4, v82, 0
	v_addc_co_u32_e32 v37, vcc, 0, v35, vcc
	v_mov_b32_e32 v43, s11
	s_mul_i32 s6, s5, 0x1b8
	s_mul_hi_u32 s11, s4, 0x1b8
	v_add_co_u32_e32 v35, vcc, s2, v36
	s_mul_i32 s3, s4, 0x1b8
	s_add_i32 s4, s11, s6
	v_addc_co_u32_e32 v36, vcc, 0, v37, vcc
	s_waitcnt lgkmcnt(2)
	v_mad_u64_u32 v[37:38], s[6:7], s7, v74, v[20:21]
	v_mov_b32_e32 v44, s4
	s_mov_b32 s0, 0xd118b474
	v_mov_b32_e32 v20, v37
	v_lshlrev_b64 v[19:20], 3, v[19:20]
	s_mov_b32 s1, 0x3f56ea28
	v_add_co_u32_e32 v19, vcc, s10, v19
	v_addc_co_u32_e32 v20, vcc, v43, v20, vcc
	v_mov_b32_e32 v45, s4
	s_waitcnt vmcnt(8)
	v_mul_f32_e32 v37, v22, v12
	v_mul_f32_e32 v12, v21, v12
	s_waitcnt vmcnt(6) lgkmcnt(1)
	v_mul_f32_e32 v43, v6, v16
	s_waitcnt vmcnt(4)
	v_mad_u64_u32 v[38:39], s[6:7], s5, v82, v[24:25]
	v_mul_f32_e32 v16, v5, v16
	v_fmac_f32_e32 v37, v21, v11
	v_mov_b32_e32 v24, v38
	v_lshlrev_b64 v[23:24], 3, v[23:24]
	v_mul_f32_e32 v38, v4, v14
	v_add_co_u32_e32 v19, vcc, v19, v23
	v_addc_co_u32_e32 v20, vcc, v20, v24, vcc
	v_add_co_u32_e32 v23, vcc, s3, v19
	v_mul_f32_e32 v14, v3, v14
	v_fma_f32 v11, v11, v22, -v12
	v_addc_co_u32_e32 v24, vcc, v20, v44, vcc
	s_waitcnt lgkmcnt(0)
	v_mul_f32_e32 v44, v8, v18
	v_mul_f32_e32 v18, v7, v18
	v_fmac_f32_e32 v38, v3, v13
	v_fma_f32 v12, v13, v4, -v14
	v_fmac_f32_e32 v43, v5, v15
	v_fma_f32 v15, v15, v6, -v16
	v_cvt_f64_f32_e32 v[3:4], v37
	v_cvt_f64_f32_e32 v[5:6], v11
	v_fmac_f32_e32 v44, v7, v17
	v_fma_f32 v21, v17, v8, -v18
	v_cvt_f64_f32_e32 v[7:8], v38
	v_cvt_f64_f32_e32 v[11:12], v12
	v_mul_f64 v[3:4], v[3:4], s[0:1]
	v_mul_f64 v[5:6], v[5:6], s[0:1]
	v_cvt_f64_f32_e32 v[13:14], v43
	v_mul_f64 v[7:8], v[7:8], s[0:1]
	v_mul_f64 v[11:12], v[11:12], s[0:1]
	global_load_dwordx2 v[39:40], v[35:36], off offset:304
	global_load_dwordx2 v[41:42], v[35:36], off offset:744
	v_mul_f64 v[13:14], v[13:14], s[0:1]
	v_cvt_f64_f32_e32 v[15:16], v15
	v_cvt_f32_f64_e32 v3, v[3:4]
	v_cvt_f32_f64_e32 v4, v[5:6]
	v_cvt_f64_f32_e32 v[17:18], v44
	v_cvt_f32_f64_e32 v5, v[7:8]
	v_cvt_f32_f64_e32 v6, v[11:12]
	global_store_dwordx2 v[19:20], v[3:4], off
	global_store_dwordx2 v[23:24], v[5:6], off
	v_cvt_f32_f64_e32 v7, v[13:14]
	global_load_dwordx2 v[13:14], v81, s[8:9] offset:3960
	v_cvt_f64_f32_e32 v[21:22], v21
	v_mul_f64 v[15:16], v[15:16], s[0:1]
	v_mul_f64 v[17:18], v[17:18], s[0:1]
	v_mul_f32_e32 v3, v10, v26
	v_mul_f64 v[21:22], v[21:22], s[0:1]
	v_fmac_f32_e32 v3, v9, v25
	v_add_co_u32_e32 v11, vcc, s3, v23
	v_addc_co_u32_e32 v12, vcc, v24, v45, vcc
	v_cvt_f32_f64_e32 v8, v[15:16]
	v_cvt_f64_f32_e32 v[15:16], v3
	v_mul_f32_e32 v3, v9, v26
	v_fma_f32 v3, v25, v10, -v3
	v_cvt_f64_f32_e32 v[9:10], v3
	ds_read2_b64 v[3:6], v2 offset0:19 offset1:74
	global_store_dwordx2 v[11:12], v[7:8], off
	v_cvt_f32_f64_e32 v7, v[17:18]
	v_cvt_f32_f64_e32 v8, v[21:22]
	v_mov_b32_e32 v17, s4
	v_add_co_u32_e32 v11, vcc, s3, v11
	v_addc_co_u32_e32 v12, vcc, v12, v17, vcc
	global_store_dwordx2 v[11:12], v[7:8], off
	v_mul_f64 v[7:8], v[15:16], s[0:1]
	s_waitcnt vmcnt(10) lgkmcnt(0)
	v_mul_f32_e32 v15, v4, v28
	v_mul_f64 v[9:10], v[9:10], s[0:1]
	v_fmac_f32_e32 v15, v3, v27
	v_mul_f32_e32 v3, v3, v28
	v_fma_f32 v3, v27, v4, -v3
	v_cvt_f64_f32_e32 v[3:4], v3
	v_cvt_f64_f32_e32 v[15:16], v15
	v_cvt_f32_f64_e32 v7, v[7:8]
	v_add_co_u32_e32 v11, vcc, s3, v11
	v_mul_f64 v[3:4], v[3:4], s[0:1]
	v_cvt_f32_f64_e32 v8, v[9:10]
	v_mul_f64 v[9:10], v[15:16], s[0:1]
	v_mov_b32_e32 v15, s4
	v_addc_co_u32_e32 v12, vcc, v12, v15, vcc
	global_store_dwordx2 v[11:12], v[7:8], off
	v_add_co_u32_e32 v11, vcc, s3, v11
	v_cvt_f32_f64_e32 v8, v[3:4]
	s_waitcnt vmcnt(10)
	v_mul_f32_e32 v3, v6, v30
	v_fmac_f32_e32 v3, v5, v29
	v_cvt_f32_f64_e32 v7, v[9:10]
	v_cvt_f64_f32_e32 v[9:10], v3
	v_mul_f32_e32 v3, v5, v30
	v_fma_f32 v3, v29, v6, -v3
	v_cvt_f64_f32_e32 v[15:16], v3
	ds_read2_b64 v[2:5], v2 offset0:129 offset1:184
	v_addc_co_u32_e32 v12, vcc, v12, v17, vcc
	global_store_dwordx2 v[11:12], v[7:8], off
	v_mul_f64 v[6:7], v[9:10], s[0:1]
	s_waitcnt vmcnt(10) lgkmcnt(0)
	v_mul_f32_e32 v10, v3, v32
	v_mul_f64 v[8:9], v[15:16], s[0:1]
	v_fmac_f32_e32 v10, v2, v31
	v_mul_f32_e32 v2, v2, v32
	v_fma_f32 v2, v31, v3, -v2
	v_cvt_f64_f32_e32 v[2:3], v2
	v_cvt_f64_f32_e32 v[15:16], v10
	v_cvt_f32_f64_e32 v6, v[6:7]
	v_add_co_u32_e32 v10, vcc, s3, v11
	v_mul_f64 v[2:3], v[2:3], s[0:1]
	v_cvt_f32_f64_e32 v7, v[8:9]
	v_mul_f64 v[8:9], v[15:16], s[0:1]
	v_mov_b32_e32 v15, s4
	v_addc_co_u32_e32 v11, vcc, v12, v15, vcc
	global_store_dwordx2 v[10:11], v[6:7], off
	v_mov_b32_e32 v12, s4
	v_cvt_f32_f64_e32 v7, v[2:3]
	s_waitcnt vmcnt(10)
	v_mul_f32_e32 v2, v5, v34
	v_fmac_f32_e32 v2, v4, v33
	v_cvt_f32_f64_e32 v6, v[8:9]
	v_cvt_f64_f32_e32 v[8:9], v2
	v_mul_f32_e32 v2, v4, v34
	v_fma_f32 v2, v33, v5, -v2
	v_cvt_f64_f32_e32 v[15:16], v2
	ds_read2_b64 v[1:4], v1 offset0:111 offset1:166
	v_add_co_u32_e32 v10, vcc, s3, v10
	v_addc_co_u32_e32 v11, vcc, v11, v12, vcc
	global_store_dwordx2 v[10:11], v[6:7], off
	v_mul_f64 v[5:6], v[8:9], s[0:1]
	s_waitcnt vmcnt(6) lgkmcnt(0)
	v_mul_f32_e32 v9, v2, v14
	v_mul_f64 v[7:8], v[15:16], s[0:1]
	v_fmac_f32_e32 v9, v1, v13
	v_mul_f32_e32 v1, v1, v14
	v_fma_f32 v1, v13, v2, -v1
	v_cvt_f64_f32_e32 v[1:2], v1
	v_cvt_f64_f32_e32 v[15:16], v9
	v_cvt_f32_f64_e32 v5, v[5:6]
	v_add_co_u32_e32 v9, vcc, s3, v10
	v_mul_f64 v[1:2], v[1:2], s[0:1]
	v_cvt_f32_f64_e32 v6, v[7:8]
	v_mul_f64 v[7:8], v[15:16], s[0:1]
	v_addc_co_u32_e32 v10, vcc, v11, v12, vcc
	global_store_dwordx2 v[9:10], v[5:6], off
	v_mov_b32_e32 v13, s4
	v_add_co_u32_e32 v9, vcc, s3, v9
	v_cvt_f32_f64_e32 v6, v[1:2]
	v_mul_f32_e32 v1, v4, v40
	v_fmac_f32_e32 v1, v3, v39
	v_cvt_f32_f64_e32 v5, v[7:8]
	v_cvt_f64_f32_e32 v[7:8], v1
	v_mul_f32_e32 v1, v3, v40
	v_fma_f32 v1, v39, v4, -v1
	v_cvt_f64_f32_e32 v[11:12], v1
	ds_read2_b64 v[0:3], v0 offset0:93 offset1:148
	v_addc_co_u32_e32 v10, vcc, v10, v13, vcc
	global_store_dwordx2 v[9:10], v[5:6], off
	v_mul_f64 v[4:5], v[7:8], s[0:1]
	v_mul_f64 v[6:7], v[11:12], s[0:1]
	s_waitcnt lgkmcnt(0)
	v_mul_f32_e32 v8, v1, v42
	v_fmac_f32_e32 v8, v0, v41
	v_mul_f32_e32 v0, v0, v42
	v_fma_f32 v0, v41, v1, -v0
	v_cvt_f64_f32_e32 v[11:12], v8
	v_cvt_f64_f32_e32 v[0:1], v0
	v_cvt_f32_f64_e32 v4, v[4:5]
	v_cvt_f32_f64_e32 v5, v[6:7]
	v_mul_f64 v[6:7], v[11:12], s[0:1]
	v_mul_f64 v[0:1], v[0:1], s[0:1]
	v_mov_b32_e32 v11, s4
	v_add_co_u32_e32 v8, vcc, s3, v9
	v_addc_co_u32_e32 v9, vcc, v10, v11, vcc
	global_store_dwordx2 v[8:9], v[4:5], off
	v_cvt_f32_f64_e32 v4, v[6:7]
	v_cvt_f32_f64_e32 v5, v[0:1]
	v_mov_b32_e32 v1, s4
	v_add_co_u32_e32 v0, vcc, s3, v8
	v_addc_co_u32_e32 v1, vcc, v9, v1, vcc
	global_store_dwordx2 v[0:1], v[4:5], off
	global_load_dwordx2 v[4:5], v[35:36], off offset:1184
	v_add_co_u32_e32 v0, vcc, s3, v0
	s_waitcnt vmcnt(0)
	v_mul_f32_e32 v6, v3, v5
	v_fmac_f32_e32 v6, v2, v4
	v_mul_f32_e32 v2, v2, v5
	v_fma_f32 v2, v4, v3, -v2
	v_cvt_f64_f32_e32 v[6:7], v6
	v_cvt_f64_f32_e32 v[2:3], v2
	v_mul_f64 v[4:5], v[6:7], s[0:1]
	v_mul_f64 v[2:3], v[2:3], s[0:1]
	v_cvt_f32_f64_e32 v4, v[4:5]
	v_cvt_f32_f64_e32 v5, v[2:3]
	v_mov_b32_e32 v2, s4
	v_addc_co_u32_e32 v1, vcc, v1, v2, vcc
	global_store_dwordx2 v[0:1], v[4:5], off
.LBB0_23:
	s_endpgm
	.section	.rodata,"a",@progbits
	.p2align	6, 0x0
	.amdhsa_kernel bluestein_single_back_len715_dim1_sp_op_CI_CI
		.amdhsa_group_segment_fixed_size 17160
		.amdhsa_private_segment_fixed_size 0
		.amdhsa_kernarg_size 104
		.amdhsa_user_sgpr_count 6
		.amdhsa_user_sgpr_private_segment_buffer 1
		.amdhsa_user_sgpr_dispatch_ptr 0
		.amdhsa_user_sgpr_queue_ptr 0
		.amdhsa_user_sgpr_kernarg_segment_ptr 1
		.amdhsa_user_sgpr_dispatch_id 0
		.amdhsa_user_sgpr_flat_scratch_init 0
		.amdhsa_user_sgpr_private_segment_size 0
		.amdhsa_uses_dynamic_stack 0
		.amdhsa_system_sgpr_private_segment_wavefront_offset 0
		.amdhsa_system_sgpr_workgroup_id_x 1
		.amdhsa_system_sgpr_workgroup_id_y 0
		.amdhsa_system_sgpr_workgroup_id_z 0
		.amdhsa_system_sgpr_workgroup_info 0
		.amdhsa_system_vgpr_workitem_id 0
		.amdhsa_next_free_vgpr 217
		.amdhsa_next_free_sgpr 20
		.amdhsa_reserve_vcc 1
		.amdhsa_reserve_flat_scratch 0
		.amdhsa_float_round_mode_32 0
		.amdhsa_float_round_mode_16_64 0
		.amdhsa_float_denorm_mode_32 3
		.amdhsa_float_denorm_mode_16_64 3
		.amdhsa_dx10_clamp 1
		.amdhsa_ieee_mode 1
		.amdhsa_fp16_overflow 0
		.amdhsa_exception_fp_ieee_invalid_op 0
		.amdhsa_exception_fp_denorm_src 0
		.amdhsa_exception_fp_ieee_div_zero 0
		.amdhsa_exception_fp_ieee_overflow 0
		.amdhsa_exception_fp_ieee_underflow 0
		.amdhsa_exception_fp_ieee_inexact 0
		.amdhsa_exception_int_div_zero 0
	.end_amdhsa_kernel
	.text
.Lfunc_end0:
	.size	bluestein_single_back_len715_dim1_sp_op_CI_CI, .Lfunc_end0-bluestein_single_back_len715_dim1_sp_op_CI_CI
                                        ; -- End function
	.section	.AMDGPU.csdata,"",@progbits
; Kernel info:
; codeLenInByte = 17072
; NumSgprs: 24
; NumVgprs: 217
; ScratchSize: 0
; MemoryBound: 0
; FloatMode: 240
; IeeeMode: 1
; LDSByteSize: 17160 bytes/workgroup (compile time only)
; SGPRBlocks: 2
; VGPRBlocks: 54
; NumSGPRsForWavesPerEU: 24
; NumVGPRsForWavesPerEU: 217
; Occupancy: 1
; WaveLimiterHint : 1
; COMPUTE_PGM_RSRC2:SCRATCH_EN: 0
; COMPUTE_PGM_RSRC2:USER_SGPR: 6
; COMPUTE_PGM_RSRC2:TRAP_HANDLER: 0
; COMPUTE_PGM_RSRC2:TGID_X_EN: 1
; COMPUTE_PGM_RSRC2:TGID_Y_EN: 0
; COMPUTE_PGM_RSRC2:TGID_Z_EN: 0
; COMPUTE_PGM_RSRC2:TIDIG_COMP_CNT: 0
	.type	__hip_cuid_2b864d90e04f8dcc,@object ; @__hip_cuid_2b864d90e04f8dcc
	.section	.bss,"aw",@nobits
	.globl	__hip_cuid_2b864d90e04f8dcc
__hip_cuid_2b864d90e04f8dcc:
	.byte	0                               ; 0x0
	.size	__hip_cuid_2b864d90e04f8dcc, 1

	.ident	"AMD clang version 19.0.0git (https://github.com/RadeonOpenCompute/llvm-project roc-6.4.0 25133 c7fe45cf4b819c5991fe208aaa96edf142730f1d)"
	.section	".note.GNU-stack","",@progbits
	.addrsig
	.addrsig_sym __hip_cuid_2b864d90e04f8dcc
	.amdgpu_metadata
---
amdhsa.kernels:
  - .args:
      - .actual_access:  read_only
        .address_space:  global
        .offset:         0
        .size:           8
        .value_kind:     global_buffer
      - .actual_access:  read_only
        .address_space:  global
        .offset:         8
        .size:           8
        .value_kind:     global_buffer
      - .actual_access:  read_only
        .address_space:  global
        .offset:         16
        .size:           8
        .value_kind:     global_buffer
      - .actual_access:  read_only
        .address_space:  global
        .offset:         24
        .size:           8
        .value_kind:     global_buffer
      - .actual_access:  read_only
        .address_space:  global
        .offset:         32
        .size:           8
        .value_kind:     global_buffer
      - .offset:         40
        .size:           8
        .value_kind:     by_value
      - .address_space:  global
        .offset:         48
        .size:           8
        .value_kind:     global_buffer
      - .address_space:  global
        .offset:         56
        .size:           8
        .value_kind:     global_buffer
      - .address_space:  global
        .offset:         64
        .size:           8
        .value_kind:     global_buffer
      - .address_space:  global
        .offset:         72
        .size:           8
        .value_kind:     global_buffer
      - .offset:         80
        .size:           4
        .value_kind:     by_value
      - .address_space:  global
        .offset:         88
        .size:           8
        .value_kind:     global_buffer
      - .address_space:  global
        .offset:         96
        .size:           8
        .value_kind:     global_buffer
    .group_segment_fixed_size: 17160
    .kernarg_segment_align: 8
    .kernarg_segment_size: 104
    .language:       OpenCL C
    .language_version:
      - 2
      - 0
    .max_flat_workgroup_size: 195
    .name:           bluestein_single_back_len715_dim1_sp_op_CI_CI
    .private_segment_fixed_size: 0
    .sgpr_count:     24
    .sgpr_spill_count: 0
    .symbol:         bluestein_single_back_len715_dim1_sp_op_CI_CI.kd
    .uniform_work_group_size: 1
    .uses_dynamic_stack: false
    .vgpr_count:     217
    .vgpr_spill_count: 0
    .wavefront_size: 64
amdhsa.target:   amdgcn-amd-amdhsa--gfx906
amdhsa.version:
  - 1
  - 2
...

	.end_amdgpu_metadata
